;; amdgpu-corpus repo=ROCm/rocFFT kind=compiled arch=gfx1201 opt=O3
	.text
	.amdgcn_target "amdgcn-amd-amdhsa--gfx1201"
	.amdhsa_code_object_version 6
	.protected	fft_rtc_back_len2016_factors_2_2_2_2_2_3_3_7_wgs_224_tpt_112_halfLds_sp_op_CI_CI_unitstride_sbrr_R2C_dirReg ; -- Begin function fft_rtc_back_len2016_factors_2_2_2_2_2_3_3_7_wgs_224_tpt_112_halfLds_sp_op_CI_CI_unitstride_sbrr_R2C_dirReg
	.globl	fft_rtc_back_len2016_factors_2_2_2_2_2_3_3_7_wgs_224_tpt_112_halfLds_sp_op_CI_CI_unitstride_sbrr_R2C_dirReg
	.p2align	8
	.type	fft_rtc_back_len2016_factors_2_2_2_2_2_3_3_7_wgs_224_tpt_112_halfLds_sp_op_CI_CI_unitstride_sbrr_R2C_dirReg,@function
fft_rtc_back_len2016_factors_2_2_2_2_2_3_3_7_wgs_224_tpt_112_halfLds_sp_op_CI_CI_unitstride_sbrr_R2C_dirReg: ; @fft_rtc_back_len2016_factors_2_2_2_2_2_3_3_7_wgs_224_tpt_112_halfLds_sp_op_CI_CI_unitstride_sbrr_R2C_dirReg
; %bb.0:
	s_clause 0x2
	s_load_b128 s[8:11], s[0:1], 0x0
	s_load_b128 s[4:7], s[0:1], 0x58
	;; [unrolled: 1-line block ×3, first 2 shown]
	v_mul_u32_u24_e32 v1, 0x24a, v0
	v_mov_b32_e32 v3, 0
	s_delay_alu instid0(VALU_DEP_2) | instskip(SKIP_2) | instid1(VALU_DEP_4)
	v_lshrrev_b32_e32 v7, 16, v1
	v_mov_b32_e32 v1, 0
	v_mov_b32_e32 v2, 0
	;; [unrolled: 1-line block ×3, first 2 shown]
	s_delay_alu instid0(VALU_DEP_4) | instskip(SKIP_2) | instid1(VALU_DEP_1)
	v_lshl_add_u32 v5, ttmp9, 1, v7
	s_wait_kmcnt 0x0
	v_cmp_lt_u64_e64 s2, s[10:11], 2
	s_and_b32 vcc_lo, exec_lo, s2
	s_cbranch_vccnz .LBB0_8
; %bb.1:
	s_load_b64 s[2:3], s[0:1], 0x10
	v_mov_b32_e32 v1, 0
	v_mov_b32_e32 v2, 0
	s_add_nc_u64 s[16:17], s[14:15], 8
	s_add_nc_u64 s[18:19], s[12:13], 8
	s_mov_b64 s[20:21], 1
	s_delay_alu instid0(VALU_DEP_1)
	v_dual_mov_b32 v25, v2 :: v_dual_mov_b32 v24, v1
	s_wait_kmcnt 0x0
	s_add_nc_u64 s[22:23], s[2:3], 8
	s_mov_b32 s3, 0
.LBB0_2:                                ; =>This Inner Loop Header: Depth=1
	s_load_b64 s[24:25], s[22:23], 0x0
                                        ; implicit-def: $vgpr30_vgpr31
	s_mov_b32 s2, exec_lo
	s_wait_kmcnt 0x0
	v_or_b32_e32 v4, s25, v6
	s_delay_alu instid0(VALU_DEP_1)
	v_cmpx_ne_u64_e32 0, v[3:4]
	s_wait_alu 0xfffe
	s_xor_b32 s26, exec_lo, s2
	s_cbranch_execz .LBB0_4
; %bb.3:                                ;   in Loop: Header=BB0_2 Depth=1
	s_cvt_f32_u32 s2, s24
	s_cvt_f32_u32 s27, s25
	s_sub_nc_u64 s[30:31], 0, s[24:25]
	s_wait_alu 0xfffe
	s_delay_alu instid0(SALU_CYCLE_1) | instskip(SKIP_1) | instid1(SALU_CYCLE_2)
	s_fmamk_f32 s2, s27, 0x4f800000, s2
	s_wait_alu 0xfffe
	v_s_rcp_f32 s2, s2
	s_delay_alu instid0(TRANS32_DEP_1) | instskip(SKIP_1) | instid1(SALU_CYCLE_2)
	s_mul_f32 s2, s2, 0x5f7ffffc
	s_wait_alu 0xfffe
	s_mul_f32 s27, s2, 0x2f800000
	s_wait_alu 0xfffe
	s_delay_alu instid0(SALU_CYCLE_2) | instskip(SKIP_1) | instid1(SALU_CYCLE_2)
	s_trunc_f32 s27, s27
	s_wait_alu 0xfffe
	s_fmamk_f32 s2, s27, 0xcf800000, s2
	s_cvt_u32_f32 s29, s27
	s_wait_alu 0xfffe
	s_delay_alu instid0(SALU_CYCLE_1) | instskip(SKIP_1) | instid1(SALU_CYCLE_2)
	s_cvt_u32_f32 s28, s2
	s_wait_alu 0xfffe
	s_mul_u64 s[34:35], s[30:31], s[28:29]
	s_wait_alu 0xfffe
	s_mul_hi_u32 s37, s28, s35
	s_mul_i32 s36, s28, s35
	s_mul_hi_u32 s2, s28, s34
	s_mul_i32 s33, s29, s34
	s_wait_alu 0xfffe
	s_add_nc_u64 s[36:37], s[2:3], s[36:37]
	s_mul_hi_u32 s27, s29, s34
	s_mul_hi_u32 s38, s29, s35
	s_add_co_u32 s2, s36, s33
	s_wait_alu 0xfffe
	s_add_co_ci_u32 s2, s37, s27
	s_mul_i32 s34, s29, s35
	s_add_co_ci_u32 s35, s38, 0
	s_wait_alu 0xfffe
	s_add_nc_u64 s[34:35], s[2:3], s[34:35]
	s_wait_alu 0xfffe
	v_add_co_u32 v4, s2, s28, s34
	s_delay_alu instid0(VALU_DEP_1) | instskip(SKIP_1) | instid1(VALU_DEP_1)
	s_cmp_lg_u32 s2, 0
	s_add_co_ci_u32 s29, s29, s35
	v_readfirstlane_b32 s28, v4
	s_wait_alu 0xfffe
	s_delay_alu instid0(VALU_DEP_1)
	s_mul_u64 s[30:31], s[30:31], s[28:29]
	s_wait_alu 0xfffe
	s_mul_hi_u32 s35, s28, s31
	s_mul_i32 s34, s28, s31
	s_mul_hi_u32 s2, s28, s30
	s_mul_i32 s33, s29, s30
	s_wait_alu 0xfffe
	s_add_nc_u64 s[34:35], s[2:3], s[34:35]
	s_mul_hi_u32 s27, s29, s30
	s_mul_hi_u32 s28, s29, s31
	s_wait_alu 0xfffe
	s_add_co_u32 s2, s34, s33
	s_add_co_ci_u32 s2, s35, s27
	s_mul_i32 s30, s29, s31
	s_add_co_ci_u32 s31, s28, 0
	s_wait_alu 0xfffe
	s_add_nc_u64 s[30:31], s[2:3], s[30:31]
	s_wait_alu 0xfffe
	v_add_co_u32 v4, s2, v4, s30
	s_delay_alu instid0(VALU_DEP_1) | instskip(SKIP_1) | instid1(VALU_DEP_1)
	s_cmp_lg_u32 s2, 0
	s_add_co_ci_u32 s2, s29, s31
	v_mul_hi_u32 v14, v5, v4
	s_wait_alu 0xfffe
	v_mad_co_u64_u32 v[8:9], null, v5, s2, 0
	v_mad_co_u64_u32 v[10:11], null, v6, v4, 0
	;; [unrolled: 1-line block ×3, first 2 shown]
	s_delay_alu instid0(VALU_DEP_3) | instskip(SKIP_1) | instid1(VALU_DEP_4)
	v_add_co_u32 v4, vcc_lo, v14, v8
	s_wait_alu 0xfffd
	v_add_co_ci_u32_e32 v8, vcc_lo, 0, v9, vcc_lo
	s_delay_alu instid0(VALU_DEP_2) | instskip(SKIP_1) | instid1(VALU_DEP_2)
	v_add_co_u32 v4, vcc_lo, v4, v10
	s_wait_alu 0xfffd
	v_add_co_ci_u32_e32 v4, vcc_lo, v8, v11, vcc_lo
	s_wait_alu 0xfffd
	v_add_co_ci_u32_e32 v8, vcc_lo, 0, v13, vcc_lo
	s_delay_alu instid0(VALU_DEP_2) | instskip(SKIP_1) | instid1(VALU_DEP_2)
	v_add_co_u32 v4, vcc_lo, v4, v12
	s_wait_alu 0xfffd
	v_add_co_ci_u32_e32 v10, vcc_lo, 0, v8, vcc_lo
	s_delay_alu instid0(VALU_DEP_2) | instskip(SKIP_1) | instid1(VALU_DEP_3)
	v_mul_lo_u32 v11, s25, v4
	v_mad_co_u64_u32 v[8:9], null, s24, v4, 0
	v_mul_lo_u32 v12, s24, v10
	s_delay_alu instid0(VALU_DEP_2) | instskip(NEXT) | instid1(VALU_DEP_2)
	v_sub_co_u32 v8, vcc_lo, v5, v8
	v_add3_u32 v9, v9, v12, v11
	s_delay_alu instid0(VALU_DEP_1) | instskip(SKIP_1) | instid1(VALU_DEP_1)
	v_sub_nc_u32_e32 v11, v6, v9
	s_wait_alu 0xfffd
	v_subrev_co_ci_u32_e64 v11, s2, s25, v11, vcc_lo
	v_add_co_u32 v12, s2, v4, 2
	s_wait_alu 0xf1ff
	v_add_co_ci_u32_e64 v13, s2, 0, v10, s2
	v_sub_co_u32 v14, s2, v8, s24
	v_sub_co_ci_u32_e32 v9, vcc_lo, v6, v9, vcc_lo
	s_wait_alu 0xf1ff
	v_subrev_co_ci_u32_e64 v11, s2, 0, v11, s2
	s_delay_alu instid0(VALU_DEP_3) | instskip(NEXT) | instid1(VALU_DEP_3)
	v_cmp_le_u32_e32 vcc_lo, s24, v14
	v_cmp_eq_u32_e64 s2, s25, v9
	s_wait_alu 0xfffd
	v_cndmask_b32_e64 v14, 0, -1, vcc_lo
	v_cmp_le_u32_e32 vcc_lo, s25, v11
	s_wait_alu 0xfffd
	v_cndmask_b32_e64 v15, 0, -1, vcc_lo
	v_cmp_le_u32_e32 vcc_lo, s24, v8
	;; [unrolled: 3-line block ×3, first 2 shown]
	s_wait_alu 0xfffd
	v_cndmask_b32_e64 v16, 0, -1, vcc_lo
	v_cmp_eq_u32_e32 vcc_lo, s25, v11
	s_wait_alu 0xf1ff
	s_delay_alu instid0(VALU_DEP_2)
	v_cndmask_b32_e64 v8, v16, v8, s2
	s_wait_alu 0xfffd
	v_cndmask_b32_e32 v11, v15, v14, vcc_lo
	v_add_co_u32 v14, vcc_lo, v4, 1
	s_wait_alu 0xfffd
	v_add_co_ci_u32_e32 v15, vcc_lo, 0, v10, vcc_lo
	s_delay_alu instid0(VALU_DEP_3) | instskip(SKIP_2) | instid1(VALU_DEP_3)
	v_cmp_ne_u32_e32 vcc_lo, 0, v11
	s_wait_alu 0xfffd
	v_cndmask_b32_e32 v11, v14, v12, vcc_lo
	v_cndmask_b32_e32 v9, v15, v13, vcc_lo
	v_cmp_ne_u32_e32 vcc_lo, 0, v8
	s_wait_alu 0xfffd
	s_delay_alu instid0(VALU_DEP_2)
	v_dual_cndmask_b32 v30, v4, v11 :: v_dual_cndmask_b32 v31, v10, v9
.LBB0_4:                                ;   in Loop: Header=BB0_2 Depth=1
	s_wait_alu 0xfffe
	s_and_not1_saveexec_b32 s2, s26
	s_cbranch_execz .LBB0_6
; %bb.5:                                ;   in Loop: Header=BB0_2 Depth=1
	v_cvt_f32_u32_e32 v4, s24
	s_sub_co_i32 s26, 0, s24
	v_mov_b32_e32 v31, v3
	s_delay_alu instid0(VALU_DEP_2) | instskip(NEXT) | instid1(TRANS32_DEP_1)
	v_rcp_iflag_f32_e32 v4, v4
	v_mul_f32_e32 v4, 0x4f7ffffe, v4
	s_delay_alu instid0(VALU_DEP_1) | instskip(SKIP_1) | instid1(VALU_DEP_1)
	v_cvt_u32_f32_e32 v4, v4
	s_wait_alu 0xfffe
	v_mul_lo_u32 v8, s26, v4
	s_delay_alu instid0(VALU_DEP_1) | instskip(NEXT) | instid1(VALU_DEP_1)
	v_mul_hi_u32 v8, v4, v8
	v_add_nc_u32_e32 v4, v4, v8
	s_delay_alu instid0(VALU_DEP_1) | instskip(NEXT) | instid1(VALU_DEP_1)
	v_mul_hi_u32 v4, v5, v4
	v_mul_lo_u32 v8, v4, s24
	s_delay_alu instid0(VALU_DEP_1) | instskip(NEXT) | instid1(VALU_DEP_1)
	v_sub_nc_u32_e32 v8, v5, v8
	v_subrev_nc_u32_e32 v10, s24, v8
	v_cmp_le_u32_e32 vcc_lo, s24, v8
	s_wait_alu 0xfffd
	s_delay_alu instid0(VALU_DEP_2) | instskip(NEXT) | instid1(VALU_DEP_1)
	v_dual_cndmask_b32 v8, v8, v10 :: v_dual_add_nc_u32 v9, 1, v4
	v_cndmask_b32_e32 v4, v4, v9, vcc_lo
	s_delay_alu instid0(VALU_DEP_2) | instskip(NEXT) | instid1(VALU_DEP_2)
	v_cmp_le_u32_e32 vcc_lo, s24, v8
	v_add_nc_u32_e32 v9, 1, v4
	s_wait_alu 0xfffd
	s_delay_alu instid0(VALU_DEP_1)
	v_cndmask_b32_e32 v30, v4, v9, vcc_lo
.LBB0_6:                                ;   in Loop: Header=BB0_2 Depth=1
	s_wait_alu 0xfffe
	s_or_b32 exec_lo, exec_lo, s2
	v_mul_lo_u32 v4, v31, s24
	s_delay_alu instid0(VALU_DEP_2)
	v_mul_lo_u32 v10, v30, s25
	s_load_b64 s[26:27], s[18:19], 0x0
	v_mad_co_u64_u32 v[8:9], null, v30, s24, 0
	s_load_b64 s[24:25], s[16:17], 0x0
	s_add_nc_u64 s[20:21], s[20:21], 1
	s_add_nc_u64 s[16:17], s[16:17], 8
	s_wait_alu 0xfffe
	v_cmp_ge_u64_e64 s2, s[20:21], s[10:11]
	s_add_nc_u64 s[18:19], s[18:19], 8
	s_add_nc_u64 s[22:23], s[22:23], 8
	v_add3_u32 v4, v9, v10, v4
	v_sub_co_u32 v5, vcc_lo, v5, v8
	s_wait_alu 0xfffd
	s_delay_alu instid0(VALU_DEP_2) | instskip(SKIP_2) | instid1(VALU_DEP_1)
	v_sub_co_ci_u32_e32 v4, vcc_lo, v6, v4, vcc_lo
	s_and_b32 vcc_lo, exec_lo, s2
	s_wait_kmcnt 0x0
	v_mul_lo_u32 v6, s26, v4
	v_mul_lo_u32 v8, s27, v5
	v_mad_co_u64_u32 v[1:2], null, s26, v5, v[1:2]
	v_mul_lo_u32 v4, s24, v4
	v_mul_lo_u32 v9, s25, v5
	v_mad_co_u64_u32 v[24:25], null, s24, v5, v[24:25]
	s_delay_alu instid0(VALU_DEP_4) | instskip(NEXT) | instid1(VALU_DEP_2)
	v_add3_u32 v2, v8, v2, v6
	v_add3_u32 v25, v9, v25, v4
	s_wait_alu 0xfffe
	s_cbranch_vccnz .LBB0_9
; %bb.7:                                ;   in Loop: Header=BB0_2 Depth=1
	v_dual_mov_b32 v5, v30 :: v_dual_mov_b32 v6, v31
	s_branch .LBB0_2
.LBB0_8:
	v_dual_mov_b32 v25, v2 :: v_dual_mov_b32 v24, v1
	v_dual_mov_b32 v31, v6 :: v_dual_mov_b32 v30, v5
.LBB0_9:
	s_load_b64 s[0:1], s[0:1], 0x28
	v_and_b32_e32 v3, 1, v7
	v_mul_hi_u32 v4, 0x2492493, v0
	s_lshl_b64 s[10:11], s[10:11], 3
                                        ; implicit-def: $vgpr26
                                        ; implicit-def: $vgpr28
                                        ; implicit-def: $vgpr42
                                        ; implicit-def: $vgpr41
                                        ; implicit-def: $vgpr40
                                        ; implicit-def: $vgpr38
                                        ; implicit-def: $vgpr36
                                        ; implicit-def: $vgpr34
                                        ; implicit-def: $vgpr32
	s_wait_kmcnt 0x0
	v_cmp_gt_u64_e32 vcc_lo, s[0:1], v[30:31]
	v_cmp_le_u64_e64 s1, s[0:1], v[30:31]
	v_cmp_eq_u32_e64 s0, 1, v3
	s_delay_alu instid0(VALU_DEP_2)
	s_and_saveexec_b32 s2, s1
	s_wait_alu 0xfffe
	s_xor_b32 s1, exec_lo, s2
; %bb.10:
	v_mul_u32_u24_e32 v1, 0x70, v4
                                        ; implicit-def: $vgpr4
	s_delay_alu instid0(VALU_DEP_1) | instskip(NEXT) | instid1(VALU_DEP_1)
	v_sub_nc_u32_e32 v26, v0, v1
                                        ; implicit-def: $vgpr0
                                        ; implicit-def: $vgpr1_vgpr2
	v_add_nc_u32_e32 v28, 0x70, v26
	v_add_nc_u32_e32 v42, 0xe0, v26
	v_add_nc_u32_e32 v41, 0x150, v26
	v_add_nc_u32_e32 v40, 0x1c0, v26
	v_add_nc_u32_e32 v38, 0x230, v26
	v_add_nc_u32_e32 v36, 0x2a0, v26
	v_add_nc_u32_e32 v34, 0x310, v26
	v_or_b32_e32 v32, 0x380, v26
; %bb.11:
	s_wait_alu 0xfffe
	s_or_saveexec_b32 s1, s1
	v_cndmask_b32_e64 v3, 0, 0x7e1, s0
	s_add_nc_u64 s[2:3], s[14:15], s[10:11]
	s_delay_alu instid0(VALU_DEP_1)
	v_lshlrev_b32_e32 v3, 3, v3
	s_wait_alu 0xfffe
	s_xor_b32 exec_lo, exec_lo, s1
	s_cbranch_execz .LBB0_13
; %bb.12:
	s_add_nc_u64 s[10:11], s[12:13], s[10:11]
	v_lshlrev_b64_e32 v[1:2], 3, v[1:2]
	s_load_b64 s[10:11], s[10:11], 0x0
	s_wait_kmcnt 0x0
	v_mul_lo_u32 v7, s11, v30
	v_mul_lo_u32 v8, s10, v31
	v_mad_co_u64_u32 v[5:6], null, s10, v30, 0
	s_delay_alu instid0(VALU_DEP_1) | instskip(SKIP_1) | instid1(VALU_DEP_2)
	v_add3_u32 v6, v6, v8, v7
	v_mul_u32_u24_e32 v7, 0x70, v4
	v_lshlrev_b64_e32 v[4:5], 3, v[5:6]
	s_delay_alu instid0(VALU_DEP_2) | instskip(NEXT) | instid1(VALU_DEP_1)
	v_sub_nc_u32_e32 v26, v0, v7
	v_lshlrev_b32_e32 v27, 3, v26
	s_delay_alu instid0(VALU_DEP_3) | instskip(SKIP_1) | instid1(VALU_DEP_4)
	v_add_co_u32 v0, s0, s4, v4
	s_wait_alu 0xf1ff
	v_add_co_ci_u32_e64 v4, s0, s5, v5, s0
	v_add_nc_u32_e32 v28, 0x70, v26
	s_delay_alu instid0(VALU_DEP_3) | instskip(SKIP_1) | instid1(VALU_DEP_3)
	v_add_co_u32 v0, s0, v0, v1
	s_wait_alu 0xf1ff
	v_add_co_ci_u32_e64 v1, s0, v4, v2, s0
	v_add3_u32 v2, 0, v3, v27
	s_delay_alu instid0(VALU_DEP_3) | instskip(SKIP_1) | instid1(VALU_DEP_3)
	v_add_co_u32 v0, s0, v0, v27
	s_wait_alu 0xf1ff
	v_add_co_ci_u32_e64 v1, s0, 0, v1, s0
	s_clause 0x11
	global_load_b64 v[4:5], v[0:1], off
	global_load_b64 v[6:7], v[0:1], off offset:896
	global_load_b64 v[8:9], v[0:1], off offset:1792
	;; [unrolled: 1-line block ×17, first 2 shown]
	v_add_nc_u32_e32 v42, 0xe0, v26
	v_add_nc_u32_e32 v41, 0x150, v26
	;; [unrolled: 1-line block ×6, first 2 shown]
	v_or_b32_e32 v32, 0x380, v26
	v_add_nc_u32_e32 v27, 0x400, v2
	v_add_nc_u32_e32 v29, 0xc00, v2
	;; [unrolled: 1-line block ×8, first 2 shown]
	s_wait_loadcnt 0x10
	ds_store_2addr_b64 v2, v[4:5], v[6:7] offset1:112
	s_wait_loadcnt 0xe
	ds_store_2addr_b64 v27, v[8:9], v[10:11] offset0:96 offset1:208
	s_wait_loadcnt 0xc
	ds_store_2addr_b64 v29, v[12:13], v[14:15] offset0:64 offset1:176
	;; [unrolled: 2-line block ×7, first 2 shown]
	s_wait_loadcnt 0x0
	ds_store_2addr_b64 v58, v[55:56], v[0:1] offset1:112
.LBB0_13:
	s_or_b32 exec_lo, exec_lo, s1
	v_lshlrev_b32_e32 v27, 3, v26
	v_add_nc_u32_e32 v63, 0, v3
	s_load_b64 s[2:3], s[2:3], 0x0
	global_wb scope:SCOPE_SE
	s_wait_dscnt 0x0
	s_wait_kmcnt 0x0
	s_barrier_signal -1
	v_add3_u32 v29, 0, v27, v3
	v_add_nc_u32_e32 v33, v63, v27
	s_barrier_wait -1
	global_inv scope:SCOPE_SE
	v_cmp_gt_u32_e64 s0, 0x60, v26
	v_add_nc_u32_e32 v5, 0x1c00, v29
	v_add_nc_u32_e32 v0, 0x800, v29
	;; [unrolled: 1-line block ×4, first 2 shown]
	ds_load_2addr_b64 v[9:12], v5 offset0:112 offset1:224
	ds_load_b64 v[6:7], v33
	v_add_nc_u32_e32 v4, 0x2400, v29
	ds_load_2addr_b64 v[17:20], v29 offset0:112 offset1:224
	ds_load_2addr_b64 v[43:46], v4 offset0:80 offset1:192
	;; [unrolled: 1-line block ×3, first 2 shown]
	v_add_nc_u32_e32 v8, 0x2c00, v29
	v_add_nc_u32_e32 v1, 0x1000, v29
	ds_load_2addr_b64 v[51:54], v8 offset0:48 offset1:160
	ds_load_b64 v[13:14], v29 offset:15232
	ds_load_2addr_b64 v[55:58], v1 offset0:48 offset1:160
	ds_load_2addr_b64 v[59:62], v16 offset0:16 offset1:128
	;; [unrolled: 1-line block ×3, first 2 shown]
	global_wb scope:SCOPE_SE
	s_wait_dscnt 0x0
	s_barrier_signal -1
	s_barrier_wait -1
	global_inv scope:SCOPE_SE
	v_dual_sub_f32 v9, v6, v9 :: v_dual_sub_f32 v10, v7, v10
	v_lshl_add_u32 v15, v26, 4, v63
	v_sub_f32_e32 v11, v17, v11
	v_dual_sub_f32 v21, v19, v43 :: v_dual_sub_f32 v22, v20, v44
	v_dual_sub_f32 v43, v47, v45 :: v_dual_sub_f32 v44, v48, v46
	v_sub_f32_e32 v12, v18, v12
	v_fma_f32 v7, v7, 2.0, -v10
	v_fma_f32 v17, v17, 2.0, -v11
	v_lshl_add_u32 v23, v28, 4, v63
	v_fma_f32 v46, v48, 2.0, -v44
	v_sub_f32_e32 v48, v50, v52
	v_sub_f32_e32 v52, v56, v54
	;; [unrolled: 1-line block ×3, first 2 shown]
	v_fma_f32 v45, v47, 2.0, -v43
	v_sub_f32_e32 v47, v49, v51
	v_fma_f32 v6, v6, 2.0, -v9
	v_dual_sub_f32 v51, v55, v53 :: v_dual_sub_f32 v60, v65, v62
	v_fma_f32 v18, v18, 2.0, -v12
	v_sub_f32_e32 v53, v57, v59
	v_fma_f32 v19, v19, 2.0, -v21
	v_fma_f32 v20, v20, 2.0, -v22
	v_dual_sub_f32 v59, v64, v61 :: v_dual_sub_f32 v14, v67, v14
	v_lshl_add_u32 v35, v42, 4, v63
	v_sub_f32_e32 v13, v66, v13
	v_lshl_add_u32 v37, v41, 4, v63
	v_fma_f32 v49, v49, 2.0, -v47
	v_fma_f32 v50, v50, 2.0, -v48
	v_lshl_add_u32 v39, v40, 4, v63
	v_fma_f32 v55, v55, 2.0, -v51
	v_fma_f32 v56, v56, 2.0, -v52
	ds_store_2addr_b64 v15, v[6:7], v[9:10] offset1:1
	ds_store_2addr_b64 v23, v[17:18], v[11:12] offset1:1
	;; [unrolled: 1-line block ×5, first 2 shown]
	v_lshlrev_b32_e32 v12, 1, v26
	v_lshl_add_u32 v6, v38, 4, v63
	v_fma_f32 v57, v57, 2.0, -v53
	v_fma_f32 v58, v58, 2.0, -v54
	v_lshl_add_u32 v10, v36, 4, v63
	v_fma_f32 v61, v64, 2.0, -v59
	v_fma_f32 v62, v65, 2.0, -v60
	;; [unrolled: 3-line block ×3, first 2 shown]
	v_lshl_add_u32 v37, v32, 4, v63
	ds_store_2addr_b64 v6, v[55:56], v[51:52] offset1:1
	ds_store_2addr_b64 v10, v[57:58], v[53:54] offset1:1
	;; [unrolled: 1-line block ×4, first 2 shown]
	global_wb scope:SCOPE_SE
	s_wait_dscnt 0x0
	s_barrier_signal -1
	s_barrier_wait -1
	global_inv scope:SCOPE_SE
	ds_load_b64 v[59:60], v33
	v_and_b32_e32 v83, 1, v26
	ds_load_2addr_b64 v[43:46], v5 offset0:112 offset1:224
	v_lshlrev_b32_e32 v47, 3, v34
	v_lshl_add_u32 v65, v42, 3, v63
	v_lshl_add_u32 v66, v28, 3, v63
	v_lshlrev_b32_e32 v7, 3, v83
	v_lshl_add_u32 v64, v41, 3, v63
	global_load_b64 v[22:23], v7, s[8:9]
	v_lshlrev_b32_e32 v11, 3, v36
	v_lshlrev_b32_e32 v9, 3, v38
	;; [unrolled: 1-line block ×5, first 2 shown]
	v_sub_nc_u32_e32 v11, v10, v11
	v_sub_nc_u32_e32 v10, v35, v47
	;; [unrolled: 1-line block ×3, first 2 shown]
	v_and_b32_e32 v84, 3, v26
	v_sub_nc_u32_e32 v7, v39, v7
	s_wait_loadcnt_dscnt 0x0
	v_dual_mul_f32 v35, v23, v44 :: v_dual_lshlrev_b32 v18, 1, v38
	s_delay_alu instid0(VALU_DEP_1) | instskip(NEXT) | instid1(VALU_DEP_1)
	v_dual_fmac_f32 v35, v22, v43 :: v_dual_lshlrev_b32 v20, 1, v34
	v_sub_f32_e32 v69, v59, v35
	v_mul_f32_e32 v35, v23, v46
	v_sub_nc_u32_e32 v6, v37, v48
	v_mul_f32_e32 v37, v23, v43
	s_delay_alu instid0(VALU_DEP_4) | instskip(NEXT) | instid1(VALU_DEP_2)
	v_fma_f32 v59, v59, 2.0, -v69
	v_fma_f32 v37, v22, v44, -v37
	s_delay_alu instid0(VALU_DEP_1) | instskip(SKIP_3) | instid1(VALU_DEP_4)
	v_sub_f32_e32 v70, v60, v37
	v_and_or_b32 v49, 0xfc, v12, v83
	v_mul_f32_e32 v37, v23, v45
	v_and_or_b32 v86, 0x3fc, v14, v83
	v_fma_f32 v60, v60, 2.0, -v70
	s_delay_alu instid0(VALU_DEP_4)
	v_lshl_add_u32 v39, v49, 3, v63
	ds_load_b64 v[61:62], v65
	ds_load_2addr_b64 v[47:50], v4 offset0:80 offset1:192
	ds_load_2addr_b64 v[51:54], v8 offset0:48 offset1:160
	ds_load_b64 v[43:44], v66
	ds_load_b64 v[67:68], v29 offset:15232
	ds_load_b64 v[71:72], v64
	ds_load_b64 v[73:74], v7
	;; [unrolled: 1-line block ×4, first 2 shown]
	ds_load_2addr_b64 v[55:58], v16 offset0:16 offset1:128
	v_lshlrev_b32_e32 v13, 1, v28
	ds_load_b64 v[79:80], v10
	ds_load_b64 v[81:82], v6
	global_wb scope:SCOPE_SE
	s_wait_dscnt 0x0
	s_barrier_signal -1
	s_barrier_wait -1
	global_inv scope:SCOPE_SE
	ds_store_2addr_b64 v39, v[59:60], v[69:70] offset1:2
	v_fmac_f32_e32 v35, v22, v45
	v_fma_f32 v37, v22, v46, -v37
	v_lshlrev_b32_e32 v19, 1, v36
	v_lshlrev_b32_e32 v15, 1, v41
	;; [unrolled: 1-line block ×3, first 2 shown]
	v_lshl_add_u32 v86, v86, 3, v63
	v_mul_f32_e32 v70, v23, v52
	v_mul_f32_e32 v60, v23, v48
	;; [unrolled: 1-line block ×3, first 2 shown]
	v_dual_mul_f32 v46, v23, v49 :: v_dual_lshlrev_b32 v17, 1, v40
	v_mul_f32_e32 v89, v58, v23
	s_delay_alu instid0(VALU_DEP_4) | instskip(NEXT) | instid1(VALU_DEP_4)
	v_fmac_f32_e32 v60, v22, v47
	v_fma_f32 v47, v22, v48, -v45
	s_delay_alu instid0(VALU_DEP_4) | instskip(SKIP_4) | instid1(VALU_DEP_4)
	v_fma_f32 v48, v22, v50, -v46
	v_mul_f32_e32 v45, v23, v51
	v_mul_f32_e32 v46, v23, v53
	;; [unrolled: 1-line block ×3, first 2 shown]
	v_dual_mul_f32 v87, v23, v54 :: v_dual_mul_f32 v88, v56, v23
	v_fma_f32 v50, v22, v52, -v45
	s_delay_alu instid0(VALU_DEP_4)
	v_fma_f32 v52, v22, v54, -v46
	v_mul_f32_e32 v45, v55, v23
	v_mul_f32_e32 v46, v57, v23
	v_fmac_f32_e32 v89, v57, v22
	v_mul_f32_e32 v57, v68, v23
	v_mul_f32_e32 v23, v67, v23
	v_fma_f32 v54, v56, v22, -v45
	v_fma_f32 v56, v58, v22, -v46
	v_and_or_b32 v46, 0x7fc, v20, v83
	v_and_or_b32 v45, 0x7fc, v19, v83
	v_fmac_f32_e32 v70, v22, v51
	v_and_or_b32 v51, 0x7fc, v21, v83
	v_sub_f32_e32 v56, v80, v56
	v_lshl_add_u32 v93, v46, 3, v63
	v_sub_f32_e32 v46, v62, v47
	v_dual_fmac_f32 v69, v22, v49 :: v_dual_sub_f32 v52, v76, v52
	v_and_or_b32 v49, 0x5fc, v18, v83
	v_fmac_f32_e32 v87, v22, v53
	v_and_or_b32 v85, 0x1fc, v13, v83
	v_fmac_f32_e32 v88, v55, v22
	v_fmac_f32_e32 v57, v67, v22
	v_fma_f32 v58, v68, v22, -v23
	v_sub_f32_e32 v48, v72, v48
	v_dual_sub_f32 v22, v43, v35 :: v_dual_and_b32 v35, 7, v26
	v_sub_f32_e32 v23, v44, v37
	v_and_or_b32 v59, 0x7fc, v17, v83
	v_lshl_add_u32 v92, v45, 3, v63
	v_sub_f32_e32 v45, v61, v60
	v_and_or_b32 v39, 0x3fc, v15, v83
	v_sub_f32_e32 v47, v71, v69
	v_lshl_add_u32 v91, v49, 3, v63
	v_sub_f32_e32 v49, v73, v70
	v_sub_f32_e32 v50, v74, v50
	v_lshl_add_u32 v94, v51, 3, v63
	v_sub_f32_e32 v51, v75, v87
	v_lshlrev_b32_e32 v83, 3, v84
	v_lshl_add_u32 v85, v85, 3, v63
	v_dual_sub_f32 v53, v77, v88 :: v_dual_sub_f32 v54, v78, v54
	v_sub_f32_e32 v55, v79, v89
	v_dual_sub_f32 v57, v81, v57 :: v_dual_sub_f32 v58, v82, v58
	v_fma_f32 v43, v43, 2.0, -v22
	v_fma_f32 v44, v44, 2.0, -v23
	v_lshl_add_u32 v90, v59, 3, v63
	v_fma_f32 v59, v61, 2.0, -v45
	v_fma_f32 v60, v62, 2.0, -v46
	v_lshl_add_u32 v39, v39, 3, v63
	v_fma_f32 v61, v71, 2.0, -v47
	v_fma_f32 v62, v72, 2.0, -v48
	;; [unrolled: 1-line block ×12, first 2 shown]
	ds_store_2addr_b64 v85, v[43:44], v[22:23] offset1:2
	ds_store_2addr_b64 v86, v[59:60], v[45:46] offset1:2
	;; [unrolled: 1-line block ×8, first 2 shown]
	global_wb scope:SCOPE_SE
	s_wait_dscnt 0x0
	s_barrier_signal -1
	s_barrier_wait -1
	global_inv scope:SCOPE_SE
	global_load_b64 v[22:23], v83, s[8:9] offset:16
	ds_load_2addr_b64 v[43:46], v5 offset0:112 offset1:224
	ds_load_b64 v[59:60], v33
	ds_load_b64 v[61:62], v65
	ds_load_2addr_b64 v[47:50], v4 offset0:80 offset1:192
	v_and_or_b32 v37, 0xf8, v12, v84
	v_and_or_b32 v39, 0x1f8, v13, v84
	;; [unrolled: 1-line block ×3, first 2 shown]
	s_delay_alu instid0(VALU_DEP_3) | instskip(NEXT) | instid1(VALU_DEP_3)
	v_lshl_add_u32 v37, v37, 3, v63
	v_lshl_add_u32 v39, v39, 3, v63
	s_delay_alu instid0(VALU_DEP_3)
	v_lshl_add_u32 v83, v83, 3, v63
	s_wait_loadcnt_dscnt 0x3
	v_mul_f32_e32 v55, v23, v44
	v_mul_f32_e32 v51, v23, v43
	s_wait_dscnt 0x0
	v_mul_f32_e32 v85, v23, v49
	s_delay_alu instid0(VALU_DEP_3) | instskip(NEXT) | instid1(VALU_DEP_3)
	v_fmac_f32_e32 v55, v22, v43
	v_fma_f32 v56, v22, v44, -v51
	ds_load_2addr_b64 v[51:54], v8 offset0:48 offset1:160
	ds_load_b64 v[43:44], v66
	ds_load_b64 v[67:68], v29 offset:15232
	v_dual_sub_f32 v69, v59, v55 :: v_dual_sub_f32 v70, v60, v56
	ds_load_b64 v[71:72], v64
	ds_load_b64 v[73:74], v7
	;; [unrolled: 1-line block ×4, first 2 shown]
	ds_load_2addr_b64 v[55:58], v16 offset0:16 offset1:128
	ds_load_b64 v[79:80], v10
	ds_load_b64 v[81:82], v6
	global_wb scope:SCOPE_SE
	s_wait_dscnt 0x0
	v_fma_f32 v59, v59, 2.0, -v69
	v_fma_f32 v60, v60, 2.0, -v70
	s_barrier_signal -1
	s_barrier_wait -1
	global_inv scope:SCOPE_SE
	ds_store_2addr_b64 v37, v[59:60], v[69:70] offset1:4
	v_mul_f32_e32 v37, v23, v46
	v_mul_f32_e32 v59, v23, v45
	;; [unrolled: 1-line block ×4, first 2 shown]
	v_and_or_b32 v60, 0x3f8, v15, v84
	v_fmac_f32_e32 v37, v22, v45
	v_fma_f32 v45, v22, v46, -v59
	v_mul_f32_e32 v59, v23, v50
	v_mul_f32_e32 v46, v23, v47
	v_fmac_f32_e32 v70, v22, v47
	v_mul_f32_e32 v47, v23, v51
	v_mul_f32_e32 v88, v58, v23
	v_fmac_f32_e32 v59, v22, v49
	v_mul_f32_e32 v49, v23, v53
	v_fma_f32 v46, v22, v48, -v46
	v_fma_f32 v48, v22, v50, -v85
	;; [unrolled: 1-line block ×3, first 2 shown]
	v_mul_f32_e32 v47, v23, v55
	v_fma_f32 v52, v22, v54, -v49
	v_mul_f32_e32 v49, v57, v23
	v_mul_f32_e32 v85, v23, v54
	v_dual_mul_f32 v87, v23, v56 :: v_dual_fmac_f32 v88, v57, v22
	v_mul_f32_e32 v57, v68, v23
	v_mul_f32_e32 v23, v67, v23
	v_fma_f32 v54, v22, v56, -v47
	v_and_or_b32 v47, 0x7f8, v19, v84
	v_fmac_f32_e32 v86, v22, v51
	v_fma_f32 v56, v58, v22, -v49
	v_and_or_b32 v49, 0x7f8, v20, v84
	v_fmac_f32_e32 v85, v22, v53
	v_and_or_b32 v51, 0x5f8, v18, v84
	v_fmac_f32_e32 v87, v22, v55
	;; [unrolled: 2-line block ×3, first 2 shown]
	v_fma_f32 v58, v68, v22, -v23
	v_sub_f32_e32 v22, v43, v37
	v_sub_f32_e32 v23, v44, v45
	v_sub_f32_e32 v45, v61, v70
	v_sub_f32_e32 v46, v62, v46
	v_lshl_add_u32 v92, v47, 3, v63
	v_dual_sub_f32 v47, v71, v59 :: v_dual_sub_f32 v48, v72, v48
	v_and_or_b32 v69, 0x7f8, v17, v84
	v_lshl_add_u32 v93, v49, 3, v63
	v_sub_f32_e32 v49, v73, v86
	v_sub_f32_e32 v50, v74, v50
	v_lshl_add_u32 v91, v51, 3, v63
	v_dual_sub_f32 v51, v75, v85 :: v_dual_sub_f32 v52, v76, v52
	v_lshl_add_u32 v94, v53, 3, v63
	v_dual_sub_f32 v53, v77, v87 :: v_dual_sub_f32 v54, v78, v54
	v_sub_f32_e32 v55, v79, v88
	v_sub_f32_e32 v56, v80, v56
	v_dual_sub_f32 v57, v81, v57 :: v_dual_lshlrev_b32 v84, 3, v35
	v_sub_f32_e32 v58, v82, v58
	v_fma_f32 v43, v43, 2.0, -v22
	v_fma_f32 v44, v44, 2.0, -v23
	v_lshl_add_u32 v89, v60, 3, v63
	v_fma_f32 v59, v61, 2.0, -v45
	v_fma_f32 v60, v62, 2.0, -v46
	;; [unrolled: 1-line block ×4, first 2 shown]
	v_lshl_add_u32 v90, v69, 3, v63
	v_fma_f32 v67, v73, 2.0, -v49
	v_fma_f32 v68, v74, 2.0, -v50
	;; [unrolled: 1-line block ×10, first 2 shown]
	ds_store_2addr_b64 v39, v[43:44], v[22:23] offset1:4
	ds_store_2addr_b64 v83, v[59:60], v[45:46] offset1:4
	;; [unrolled: 1-line block ×8, first 2 shown]
	global_wb scope:SCOPE_SE
	s_wait_dscnt 0x0
	s_barrier_signal -1
	s_barrier_wait -1
	global_inv scope:SCOPE_SE
	global_load_b64 v[22:23], v84, s[8:9] offset:48
	ds_load_2addr_b64 v[43:46], v5 offset0:112 offset1:224
	ds_load_b64 v[59:60], v33
	ds_load_b64 v[61:62], v65
	ds_load_2addr_b64 v[47:50], v4 offset0:80 offset1:192
	v_and_or_b32 v39, 0xf0, v12, v35
	v_and_b32_e32 v37, 15, v26
	v_and_or_b32 v83, 0x1f0, v13, v35
	v_and_or_b32 v84, 0x3f0, v14, v35
	s_delay_alu instid0(VALU_DEP_4) | instskip(NEXT) | instid1(VALU_DEP_4)
	v_lshl_add_u32 v39, v39, 3, v63
	v_lshlrev_b32_e32 v89, 3, v37
	s_delay_alu instid0(VALU_DEP_4) | instskip(NEXT) | instid1(VALU_DEP_4)
	v_lshl_add_u32 v83, v83, 3, v63
	v_lshl_add_u32 v84, v84, 3, v63
	v_and_or_b32 v12, 0xe0, v12, v37
	s_wait_loadcnt_dscnt 0x3
	v_mul_f32_e32 v55, v23, v44
	v_mul_f32_e32 v51, v23, v43
	s_wait_dscnt 0x0
	v_mul_f32_e32 v85, v23, v49
	s_delay_alu instid0(VALU_DEP_3) | instskip(NEXT) | instid1(VALU_DEP_3)
	v_fmac_f32_e32 v55, v22, v43
	v_fma_f32 v56, v22, v44, -v51
	ds_load_2addr_b64 v[51:54], v8 offset0:48 offset1:160
	ds_load_b64 v[43:44], v66
	ds_load_b64 v[67:68], v29 offset:15232
	v_dual_sub_f32 v69, v59, v55 :: v_dual_sub_f32 v70, v60, v56
	ds_load_b64 v[71:72], v64
	ds_load_b64 v[73:74], v7
	;; [unrolled: 1-line block ×4, first 2 shown]
	ds_load_2addr_b64 v[55:58], v16 offset0:16 offset1:128
	ds_load_b64 v[79:80], v10
	ds_load_b64 v[81:82], v6
	global_wb scope:SCOPE_SE
	s_wait_dscnt 0x0
	v_fma_f32 v59, v59, 2.0, -v69
	v_fma_f32 v60, v60, 2.0, -v70
	s_barrier_signal -1
	s_barrier_wait -1
	global_inv scope:SCOPE_SE
	ds_store_2addr_b64 v39, v[59:60], v[69:70] offset1:8
	v_mul_f32_e32 v39, v23, v46
	v_mul_f32_e32 v59, v23, v45
	;; [unrolled: 1-line block ×4, first 2 shown]
	v_and_or_b32 v60, 0x3f0, v15, v35
	v_fmac_f32_e32 v39, v22, v45
	v_fma_f32 v45, v22, v46, -v59
	v_mul_f32_e32 v59, v23, v50
	v_mul_f32_e32 v46, v23, v47
	v_fmac_f32_e32 v70, v22, v47
	v_mul_f32_e32 v47, v23, v51
	v_mul_f32_e32 v88, v58, v23
	v_fmac_f32_e32 v59, v22, v49
	v_mul_f32_e32 v49, v23, v53
	v_fma_f32 v46, v22, v48, -v46
	v_fma_f32 v48, v22, v50, -v85
	;; [unrolled: 1-line block ×3, first 2 shown]
	v_mul_f32_e32 v47, v23, v55
	v_fma_f32 v52, v22, v54, -v49
	v_mul_f32_e32 v49, v57, v23
	v_mul_f32_e32 v85, v23, v54
	v_dual_mul_f32 v87, v23, v56 :: v_dual_fmac_f32 v88, v57, v22
	v_mul_f32_e32 v57, v68, v23
	v_mul_f32_e32 v23, v67, v23
	v_fma_f32 v54, v22, v56, -v47
	v_and_or_b32 v47, 0x7f0, v19, v35
	v_fmac_f32_e32 v86, v22, v51
	v_fma_f32 v56, v58, v22, -v49
	v_and_or_b32 v49, 0x7f0, v20, v35
	v_fmac_f32_e32 v85, v22, v53
	v_and_or_b32 v51, 0x5f0, v18, v35
	v_fmac_f32_e32 v87, v22, v55
	v_fmac_f32_e32 v57, v67, v22
	v_fma_f32 v58, v68, v22, -v23
	v_dual_sub_f32 v22, v43, v39 :: v_dual_sub_f32 v23, v44, v45
	v_sub_f32_e32 v45, v61, v70
	v_sub_f32_e32 v46, v62, v46
	v_lshl_add_u32 v93, v47, 3, v63
	v_dual_sub_f32 v47, v71, v59 :: v_dual_sub_f32 v48, v72, v48
	v_and_or_b32 v69, 0x7f0, v17, v35
	v_lshl_add_u32 v94, v49, 3, v63
	v_sub_f32_e32 v49, v73, v86
	v_sub_f32_e32 v50, v74, v50
	v_lshl_add_u32 v92, v51, 3, v63
	v_dual_sub_f32 v51, v75, v85 :: v_dual_sub_f32 v52, v76, v52
	v_and_or_b32 v35, 0x7f0, v21, v35
	v_dual_sub_f32 v53, v77, v87 :: v_dual_sub_f32 v54, v78, v54
	v_sub_f32_e32 v55, v79, v88
	v_dual_sub_f32 v56, v80, v56 :: v_dual_sub_f32 v57, v81, v57
	v_sub_f32_e32 v58, v82, v58
	v_fma_f32 v43, v43, 2.0, -v22
	v_fma_f32 v44, v44, 2.0, -v23
	v_lshl_add_u32 v90, v60, 3, v63
	v_fma_f32 v59, v61, 2.0, -v45
	v_fma_f32 v60, v62, 2.0, -v46
	v_fma_f32 v61, v71, 2.0, -v47
	v_fma_f32 v62, v72, 2.0, -v48
	v_lshl_add_u32 v91, v69, 3, v63
	v_fma_f32 v67, v73, 2.0, -v49
	v_fma_f32 v68, v74, 2.0, -v50
	;; [unrolled: 5-line block ×3, first 2 shown]
	v_fma_f32 v73, v79, 2.0, -v55
	v_fma_f32 v74, v80, 2.0, -v56
	;; [unrolled: 1-line block ×4, first 2 shown]
	ds_store_2addr_b64 v83, v[43:44], v[22:23] offset1:8
	ds_store_2addr_b64 v84, v[59:60], v[45:46] offset1:8
	;; [unrolled: 1-line block ×8, first 2 shown]
	global_wb scope:SCOPE_SE
	s_wait_dscnt 0x0
	s_barrier_signal -1
	s_barrier_wait -1
	global_inv scope:SCOPE_SE
	global_load_b64 v[22:23], v89, s[8:9] offset:112
	v_and_or_b32 v43, 0x1e0, v13, v37
	v_and_or_b32 v44, 0x3e0, v14, v37
	;; [unrolled: 1-line block ×3, first 2 shown]
	v_lshl_add_u32 v73, v12, 3, v63
	ds_load_2addr_b64 v[12:15], v5 offset0:112 offset1:224
	v_and_or_b32 v46, 0x7e0, v17, v37
	v_and_or_b32 v47, 0x5e0, v18, v37
	;; [unrolled: 1-line block ×4, first 2 shown]
	ds_load_2addr_b64 v[17:20], v4 offset0:80 offset1:192
	v_lshl_add_u32 v74, v43, 3, v63
	v_lshl_add_u32 v75, v44, 3, v63
	;; [unrolled: 1-line block ×7, first 2 shown]
	ds_load_b64 v[51:52], v33
	ds_load_b64 v[53:54], v65
	ds_load_2addr_b64 v[43:46], v8 offset0:48 offset1:160
	ds_load_b64 v[55:56], v64
	ds_load_b64 v[57:58], v7
	;; [unrolled: 1-line block ×4, first 2 shown]
	ds_load_2addr_b64 v[47:50], v16 offset0:16 offset1:128
	ds_load_b64 v[67:68], v66
	ds_load_b64 v[69:70], v29 offset:15232
	v_and_or_b32 v21, 0x7e0, v21, v37
	v_and_b32_e32 v39, 31, v28
	v_and_b32_e32 v35, 31, v26
	s_delay_alu instid0(VALU_DEP_3) | instskip(NEXT) | instid1(VALU_DEP_3)
	v_lshl_add_u32 v81, v21, 3, v63
	v_lshlrev_b32_e32 v37, 4, v39
	s_wait_loadcnt_dscnt 0xb
	v_mul_f32_e32 v21, v23, v13
	v_mul_f32_e32 v71, v23, v12
	;; [unrolled: 1-line block ×4, first 2 shown]
	s_wait_dscnt 0xa
	v_mul_f32_e32 v83, v23, v18
	v_fmac_f32_e32 v21, v22, v12
	v_fma_f32 v71, v22, v13, -v71
	v_fmac_f32_e32 v72, v22, v14
	v_fma_f32 v82, v22, v15, -v82
	ds_load_b64 v[12:13], v10
	ds_load_b64 v[14:15], v6
	v_mul_f32_e32 v84, v23, v17
	v_fmac_f32_e32 v83, v22, v17
	s_wait_dscnt 0x4
	v_mul_f32_e32 v17, v23, v47
	v_mul_f32_e32 v85, v23, v20
	;; [unrolled: 1-line block ×5, first 2 shown]
	v_fma_f32 v84, v22, v18, -v84
	v_mul_f32_e32 v92, v50, v23
	v_mul_f32_e32 v18, v49, v23
	v_fma_f32 v93, v22, v48, -v17
	s_wait_dscnt 0x2
	v_mul_f32_e32 v95, v70, v23
	v_mul_f32_e32 v17, v69, v23
	v_mul_f32_e32 v89, v23, v46
	v_mul_f32_e32 v90, v23, v45
	v_mul_f32_e32 v91, v23, v48
	v_fmac_f32_e32 v85, v22, v19
	v_fma_f32 v86, v22, v20, -v86
	v_fmac_f32_e32 v87, v22, v43
	v_fma_f32 v88, v22, v44, -v88
	;; [unrolled: 2-line block ×5, first 2 shown]
	v_fmac_f32_e32 v91, v22, v47
	v_dual_sub_f32 v17, v51, v21 :: v_dual_sub_f32 v18, v52, v71
	v_dual_sub_f32 v19, v67, v72 :: v_dual_sub_f32 v20, v68, v82
	;; [unrolled: 1-line block ×5, first 2 shown]
	s_wait_dscnt 0x1
	v_dual_sub_f32 v69, v12, v92 :: v_dual_sub_f32 v70, v13, v94
	s_wait_dscnt 0x0
	v_sub_f32_e32 v71, v14, v95
	v_sub_f32_e32 v72, v15, v23
	v_dual_sub_f32 v47, v59, v89 :: v_dual_sub_f32 v48, v60, v90
	v_dual_sub_f32 v49, v61, v91 :: v_dual_sub_f32 v50, v62, v93
	v_fma_f32 v51, v51, 2.0, -v17
	v_fma_f32 v52, v52, 2.0, -v18
	;; [unrolled: 1-line block ×4, first 2 shown]
	v_and_b32_e32 v23, 31, v41
	v_fma_f32 v53, v53, 2.0, -v21
	v_fma_f32 v54, v54, 2.0, -v22
	;; [unrolled: 1-line block ×10, first 2 shown]
	global_wb scope:SCOPE_SE
	s_barrier_signal -1
	s_barrier_wait -1
	global_inv scope:SCOPE_SE
	v_fma_f32 v59, v59, 2.0, -v47
	v_fma_f32 v60, v60, 2.0, -v48
	;; [unrolled: 1-line block ×4, first 2 shown]
	ds_store_2addr_b64 v73, v[51:52], v[17:18] offset1:16
	ds_store_2addr_b64 v74, v[67:68], v[19:20] offset1:16
	;; [unrolled: 1-line block ×9, first 2 shown]
	global_wb scope:SCOPE_SE
	s_wait_dscnt 0x0
	s_barrier_signal -1
	s_barrier_wait -1
	global_inv scope:SCOPE_SE
	global_load_b128 v[12:15], v37, s[8:9] offset:240
	v_lshlrev_b32_e32 v17, 4, v35
	v_lshlrev_b32_e32 v21, 4, v23
	s_clause 0x1
	global_load_b128 v[17:20], v17, s[8:9] offset:240
	global_load_b128 v[43:46], v21, s[8:9] offset:240
	v_and_b32_e32 v37, 31, v38
	v_lshrrev_b32_e32 v55, 5, v28
	v_lshrrev_b32_e32 v56, 5, v41
	ds_load_2addr_b64 v[51:54], v8 offset0:48 offset1:160
	v_lshrrev_b32_e32 v59, 5, v26
	v_lshlrev_b32_e32 v21, 4, v37
	v_mul_lo_u32 v67, 0x60, v55
	v_mul_lo_u32 v68, 0x60, v56
	ds_load_2addr_b64 v[55:58], v5 offset0:112 offset1:224
	v_mul_u32_u24_e32 v82, 0x60, v59
	global_load_b128 v[47:50], v21, s[8:9] offset:240
	ds_load_b64 v[21:22], v10
	ds_load_2addr_b64 v[59:62], v16 offset0:16 offset1:128
	v_lshrrev_b32_e32 v79, 5, v42
	v_or_b32_e32 v39, v67, v39
	v_or_b32_e32 v23, v68, v23
	ds_load_b64 v[71:72], v33
	ds_load_b64 v[73:74], v11
	ds_load_2addr_b64 v[67:70], v4 offset0:80 offset1:192
	ds_load_b64 v[75:76], v65
	ds_load_2addr_b32 v[77:78], v6 offset1:1
	v_lshrrev_b32_e32 v81, 5, v38
	v_lshrrev_b32_e32 v80, 5, v40
	v_lshl_add_u32 v39, v39, 3, v63
	v_lshl_add_u32 v23, v23, 3, v63
	s_wait_loadcnt_dscnt 0x306
	v_mul_f32_e32 v83, v13, v22
	v_dual_mul_f32 v13, v13, v21 :: v_dual_mul_f32 v84, v15, v52
	v_mul_f32_e32 v15, v15, v51
	s_delay_alu instid0(VALU_DEP_3) | instskip(NEXT) | instid1(VALU_DEP_3)
	v_fmac_f32_e32 v83, v12, v21
	v_fma_f32 v85, v12, v22, -v13
	s_wait_loadcnt 0x2
	v_mul_f32_e32 v86, v54, v20
	v_mul_f32_e32 v12, v53, v20
	v_fmac_f32_e32 v84, v14, v51
	v_fma_f32 v51, v14, v52, -v15
	s_wait_loadcnt 0x1
	v_mul_f32_e32 v52, v56, v44
	v_mul_f32_e32 v13, v55, v44
	s_wait_dscnt 0x5
	v_mul_f32_e32 v87, v60, v46
	v_mul_f32_e32 v14, v59, v46
	v_fmac_f32_e32 v86, v53, v19
	v_fma_f32 v53, v54, v19, -v12
	v_mul_f32_e32 v54, v58, v18
	v_dual_mul_f32 v21, v57, v18 :: v_dual_fmac_f32 v52, v55, v43
	v_fma_f32 v55, v56, v43, -v13
	v_fmac_f32_e32 v87, v59, v45
	v_mul_f32_e32 v59, v62, v20
	v_mul_f32_e32 v43, v61, v20
	v_fma_f32 v56, v60, v45, -v14
	ds_load_b64 v[12:13], v64
	ds_load_b64 v[14:15], v7
	v_fmac_f32_e32 v54, v57, v17
	v_fma_f32 v57, v58, v17, -v21
	ds_load_b64 v[21:22], v9
	v_fmac_f32_e32 v59, v61, v19
	v_fma_f32 v61, v62, v19, -v43
	ds_load_b64 v[43:44], v66
	ds_load_b64 v[45:46], v29 offset:15232
	s_wait_dscnt 0x8
	v_mul_f32_e32 v58, v18, v74
	v_mul_f32_e32 v60, v18, v73
	v_mul_lo_u32 v62, 0x60, v79
	v_mul_lo_u32 v79, 0x60, v81
	v_sub_f32_e32 v90, v57, v61
	s_wait_dscnt 0x5
	v_dual_fmac_f32 v58, v17, v73 :: v_dual_mul_f32 v73, v78, v18
	v_mul_f32_e32 v18, v18, v77
	v_fma_f32 v60, v17, v74, -v60
	v_mul_lo_u32 v74, 0x60, v80
	v_or_b32_e32 v80, v82, v35
	v_fmac_f32_e32 v73, v17, v77
	v_fma_f32 v77, v78, v17, -v18
	v_mul_f32_e32 v17, v20, v70
	v_mul_f32_e32 v18, v20, v69
	v_or_b32_e32 v37, v79, v37
	v_sub_f32_e32 v82, v85, v51
	v_or_b32_e32 v62, v62, v35
	v_fmac_f32_e32 v17, v19, v69
	v_fma_f32 v18, v19, v70, -v18
	s_wait_loadcnt 0x0
	v_mul_f32_e32 v69, v68, v48
	s_wait_dscnt 0x0
	v_dual_mul_f32 v19, v67, v48 :: v_dual_mul_f32 v20, v45, v50
	v_mul_f32_e32 v70, v46, v50
	v_sub_f32_e32 v79, v60, v18
	v_fmac_f32_e32 v69, v67, v47
	s_delay_alu instid0(VALU_DEP_4)
	v_fma_f32 v67, v68, v47, -v19
	v_fma_f32 v68, v46, v49, -v20
	v_add_f32_e32 v20, v72, v60
	v_add_f32_e32 v46, v44, v85
	v_dual_fmac_f32 v70, v45, v49 :: v_dual_add_f32 v19, v71, v58
	v_dual_add_f32 v60, v60, v18 :: v_dual_add_f32 v45, v43, v83
	v_add_f32_e32 v85, v85, v51
	v_dual_add_f32 v47, v75, v73 :: v_dual_add_f32 v18, v20, v18
	v_add_f32_e32 v48, v76, v77
	v_dual_add_f32 v49, v12, v52 :: v_dual_add_f32 v20, v46, v51
	v_dual_add_f32 v50, v13, v55 :: v_dual_add_f32 v51, v15, v57
	v_or_b32_e32 v35, v74, v35
	v_and_b32_e32 v74, 0xffff, v41
	v_add_f32_e32 v78, v58, v17
	v_sub_f32_e32 v81, v58, v17
	v_add_f32_e32 v17, v19, v17
	v_add_f32_e32 v19, v45, v84
	v_dual_add_f32 v45, v47, v86 :: v_dual_add_f32 v46, v48, v53
	v_dual_add_f32 v48, v50, v56 :: v_dual_add_f32 v47, v49, v87
	;; [unrolled: 1-line block ×3, first 2 shown]
	v_dual_add_f32 v88, v73, v86 :: v_dual_and_b32 v51, 0xffff, v40
	v_sub_f32_e32 v89, v77, v53
	v_add_f32_e32 v77, v77, v53
	v_dual_sub_f32 v73, v73, v86 :: v_dual_sub_f32 v86, v55, v56
	v_add_f32_e32 v53, v55, v56
	v_add_f32_e32 v55, v57, v61
	v_add_f32_e32 v49, v49, v59
	v_add_f32_e32 v56, v54, v59
	v_sub_f32_e32 v57, v54, v59
	v_mul_u32_u24_e32 v59, 0xaaab, v74
	v_mul_u32_u24_e32 v61, 0xaaab, v51
	v_fmac_f32_e32 v44, -0.5, v85
	v_fma_f32 v75, -0.5, v88, v75
	v_add_f32_e32 v58, v83, v84
	v_lshrrev_b32_e32 v85, 22, v59
	v_lshrrev_b32_e32 v88, 22, v61
	v_dual_sub_f32 v83, v83, v84 :: v_dual_add_f32 v84, v52, v87
	v_add_nc_u32_e32 v54, 0xffffffa0, v26
	s_delay_alu instid0(VALU_DEP_4)
	v_mul_lo_u16 v59, 0x60, v85
	v_fmac_f32_e32 v13, -0.5, v53
	v_mul_lo_u16 v53, 0x60, v88
	v_sub_f32_e32 v87, v52, v87
	v_add_f32_e32 v52, v22, v67
	v_sub_f32_e32 v74, v67, v68
	v_add_f32_e32 v67, v67, v68
	v_fma_f32 v71, -0.5, v78, v71
	v_fmac_f32_e32 v72, -0.5, v60
	v_add_f32_e32 v60, v69, v70
	v_fma_f32 v12, -0.5, v84, v12
	s_wait_alu 0xf1ff
	v_cndmask_b32_e64 v84, v54, v26, s0
	v_sub_nc_u16 v54, v41, v59
	v_sub_nc_u16 v53, v40, v53
	v_fma_f32 v43, -0.5, v58, v43
	v_add_f32_e32 v51, v21, v69
	v_sub_f32_e32 v78, v69, v70
	v_fmac_f32_e32 v76, -0.5, v77
	v_dual_fmac_f32 v22, -0.5, v67 :: v_dual_and_b32 v77, 0xff, v28
	v_lshl_add_u32 v80, v80, 3, v63
	v_and_b32_e32 v92, 0xffff, v54
	v_and_b32_e32 v93, 0xffff, v53
	v_fma_f32 v14, -0.5, v56, v14
	v_fmac_f32_e32 v15, -0.5, v55
	v_fma_f32 v21, -0.5, v60, v21
	v_fmamk_f32 v53, v79, 0xbf5db3d7, v71
	v_dual_fmamk_f32 v54, v81, 0x3f5db3d7, v72 :: v_dual_fmac_f32 v71, 0x3f5db3d7, v79
	v_dual_fmac_f32 v72, 0xbf5db3d7, v81 :: v_dual_fmamk_f32 v55, v82, 0xbf5db3d7, v43
	v_dual_fmamk_f32 v56, v83, 0x3f5db3d7, v44 :: v_dual_fmac_f32 v43, 0x3f5db3d7, v82
	v_dual_fmac_f32 v44, 0xbf5db3d7, v83 :: v_dual_add_f32 v51, v51, v70
	v_lshl_add_u32 v91, v62, 3, v63
	v_fmamk_f32 v59, v89, 0xbf5db3d7, v75
	v_fmamk_f32 v60, v73, 0x3f5db3d7, v76
	;; [unrolled: 1-line block ×3, first 2 shown]
	v_fmac_f32_e32 v22, 0xbf5db3d7, v78
	v_add_f32_e32 v52, v52, v68
	v_lshl_add_u32 v35, v35, 3, v63
	v_lshl_add_u32 v37, v37, 3, v63
	global_wb scope:SCOPE_SE
	s_barrier_signal -1
	s_barrier_wait -1
	global_inv scope:SCOPE_SE
	v_fmac_f32_e32 v75, 0x3f5db3d7, v89
	v_fmac_f32_e32 v76, 0xbf5db3d7, v73
	v_fmamk_f32 v61, v86, 0xbf5db3d7, v12
	v_fmac_f32_e32 v12, 0x3f5db3d7, v86
	v_fmamk_f32 v62, v87, 0x3f5db3d7, v13
	;; [unrolled: 2-line block ×5, first 2 shown]
	v_fmac_f32_e32 v21, 0x3f5db3d7, v74
	ds_store_2addr_b64 v80, v[17:18], v[53:54] offset1:32
	ds_store_b64 v80, v[71:72] offset:512
	ds_store_2addr_b64 v39, v[19:20], v[55:56] offset1:32
	ds_store_b64 v39, v[43:44] offset:512
	;; [unrolled: 2-line block ×6, first 2 shown]
	v_mul_lo_u16 v22, 0xab, v77
	v_dual_mov_b32 v58, 0 :: v_dual_and_b32 v21, 0xffff, v42
	v_lshlrev_b32_e32 v57, 1, v84
	v_lshlrev_b32_e32 v94, 4, v92
	s_delay_alu instid0(VALU_DEP_4)
	v_lshrrev_b16 v35, 14, v22
	v_lshlrev_b32_e32 v95, 4, v93
	v_mul_u32_u24_e32 v23, 0xaaab, v21
	v_lshlrev_b64_e32 v[21:22], 3, v[57:58]
	global_wb scope:SCOPE_SE
	s_wait_dscnt 0x0
	s_barrier_signal -1
	s_barrier_wait -1
	global_inv scope:SCOPE_SE
	global_load_b128 v[12:15], v94, s[8:9] offset:752
	v_and_b32_e32 v37, 0xffff, v38
	v_mul_lo_u16 v39, 0x60, v35
	v_add_co_u32 v21, s0, s8, v21
	global_load_b128 v[17:20], v95, s[8:9] offset:752
	v_lshrrev_b32_e32 v23, 22, v23
	s_wait_alu 0xf1ff
	v_add_co_ci_u32_e64 v22, s0, s9, v22, s0
	v_sub_nc_u16 v39, v28, v39
	v_mul_u32_u24_e32 v37, 0xaaab, v37
	v_mul_lo_u16 v43, 0x60, v23
	global_load_b128 v[47:50], v[21:22], off offset:752
	v_cmp_lt_u32_e64 s0, 0x5f, v26
	v_and_b32_e32 v21, 0xff, v39
	v_lshrrev_b32_e32 v22, 22, v37
	v_sub_nc_u16 v37, v42, v43
	v_lshlrev_b32_e32 v44, 3, v84
	ds_load_2addr_b64 v[71:74], v16 offset0:16 offset1:128
	v_lshlrev_b32_e32 v39, 4, v21
	v_mul_lo_u16 v43, 0x60, v22
	v_and_b32_e32 v37, 0xffff, v37
	v_and_b32_e32 v35, 0xffff, v35
	v_mad_u32_u24 v23, 0x900, v23, 0
	global_load_b128 v[51:54], v39, s[8:9] offset:752
	v_sub_nc_u16 v39, v38, v43
	v_lshlrev_b32_e32 v43, 4, v37
	v_mad_u32_u24 v55, 0x900, v88, 0
	v_mad_u32_u24 v22, 0x900, v22, 0
	;; [unrolled: 1-line block ×3, first 2 shown]
	v_and_b32_e32 v39, 0xffff, v39
	global_load_b128 v[59:62], v43, s[8:9] offset:752
	v_lshlrev_b32_e32 v21, 3, v21
	v_lshlrev_b32_e32 v37, 3, v37
	;; [unrolled: 1-line block ×6, first 2 shown]
	v_add3_u32 v35, v35, v21, v3
	v_add3_u32 v23, v23, v37, v3
	global_load_b128 v[67:70], v43, s[8:9] offset:752
	s_wait_alu 0xf1ff
	v_cndmask_b32_e64 v43, 0, 0x900, s0
	v_add3_u32 v80, v55, v75, v3
	v_add3_u32 v39, v22, v39, v3
	v_add_nc_u32_e32 v57, 0x2000, v29
	v_cmp_gt_u32_e64 s0, 64, v26
	v_add_nc_u32_e32 v43, 0, v43
	s_delay_alu instid0(VALU_DEP_1) | instskip(SKIP_2) | instid1(VALU_DEP_1)
	v_add3_u32 v79, v43, v44, v3
	ds_load_2addr_b64 v[43:46], v5 offset0:112 offset1:224
	v_mad_u32_u24 v5, 0x900, v85, 0
	v_add3_u32 v37, v5, v56, v3
	ds_load_b64 v[21:22], v33
	ds_load_b64 v[55:56], v11
	ds_load_2addr_b64 v[75:78], v4 offset0:80 offset1:192
	ds_load_b64 v[3:4], v10
	s_wait_loadcnt_dscnt 0x504
	v_mul_f32_e32 v81, v44, v13
	v_dual_mul_f32 v5, v43, v13 :: v_dual_mul_f32 v82, v72, v15
	s_wait_loadcnt 0x4
	v_dual_mul_f32 v10, v71, v15 :: v_dual_mul_f32 v83, v46, v18
	v_mul_f32_e32 v15, v45, v18
	v_fmac_f32_e32 v81, v43, v12
	v_fma_f32 v84, v44, v12, -v5
	v_fmac_f32_e32 v82, v71, v14
	v_fma_f32 v71, v72, v14, -v10
	ds_load_2addr_b64 v[10:13], v8 offset0:48 offset1:160
	v_mul_f32_e32 v72, v74, v20
	v_mul_f32_e32 v5, v73, v20
	v_fmac_f32_e32 v83, v45, v17
	v_fma_f32 v85, v46, v17, -v15
	ds_load_b64 v[14:15], v65
	v_fmac_f32_e32 v72, v73, v19
	v_fma_f32 v73, v74, v19, -v5
	ds_load_b64 v[17:18], v64
	ds_load_b64 v[43:44], v7
	;; [unrolled: 1-line block ×3, first 2 shown]
	s_wait_loadcnt_dscnt 0x307
	v_mul_f32_e32 v7, v48, v56
	s_wait_dscnt 0x6
	v_dual_mul_f32 v9, v48, v55 :: v_dual_mul_f32 v74, v50, v78
	v_mul_f32_e32 v19, v50, v77
	ds_load_b64 v[5:6], v6
	v_fmac_f32_e32 v7, v47, v55
	v_fma_f32 v9, v47, v56, -v9
	v_fmac_f32_e32 v74, v49, v77
	v_fma_f32 v49, v49, v78, -v19
	ds_load_b64 v[19:20], v66
	ds_load_b64 v[47:48], v29 offset:15232
	s_wait_loadcnt_dscnt 0x208
	v_mul_f32_e32 v50, v52, v4
	v_mul_f32_e32 v52, v52, v3
	s_wait_dscnt 0x7
	v_mul_f32_e32 v55, v54, v11
	v_dual_add_f32 v77, v81, v82 :: v_dual_sub_f32 v78, v84, v71
	v_fmac_f32_e32 v50, v51, v3
	v_fma_f32 v3, v51, v4, -v52
	v_mul_f32_e32 v4, v54, v10
	s_wait_loadcnt 0x1
	v_mul_f32_e32 v51, v13, v62
	s_wait_dscnt 0x5
	v_dual_fmac_f32 v55, v53, v10 :: v_dual_add_f32 v86, v18, v84
	v_add_f32_e32 v84, v84, v71
	v_fma_f32 v10, v53, v11, -v4
	s_wait_dscnt 0x2
	v_dual_mul_f32 v4, v12, v62 :: v_dual_mul_f32 v11, v6, v60
	v_mul_f32_e32 v52, v5, v60
	s_wait_loadcnt 0x0
	v_mul_f32_e32 v53, v76, v68
	v_fmac_f32_e32 v51, v12, v61
	v_fma_f32 v12, v13, v61, -v4
	s_wait_dscnt 0x0
	v_dual_mul_f32 v4, v75, v68 :: v_dual_mul_f32 v13, v48, v70
	v_dual_mul_f32 v54, v47, v70 :: v_dual_fmac_f32 v11, v5, v59
	v_fma_f32 v5, v6, v59, -v52
	v_fmac_f32_e32 v53, v75, v67
	s_delay_alu instid0(VALU_DEP_4)
	v_fma_f32 v52, v76, v67, -v4
	v_fmac_f32_e32 v13, v47, v69
	v_fma_f32 v48, v48, v69, -v54
	v_dual_add_f32 v4, v21, v7 :: v_dual_add_f32 v47, v7, v74
	v_sub_f32_e32 v54, v9, v49
	v_add_f32_e32 v6, v22, v9
	v_dual_add_f32 v9, v9, v49 :: v_dual_add_f32 v56, v19, v50
	v_dual_add_f32 v59, v50, v55 :: v_dual_add_f32 v62, v3, v10
	v_add_f32_e32 v61, v20, v3
	v_dual_add_f32 v68, v11, v51 :: v_dual_add_f32 v75, v5, v12
	v_sub_f32_e32 v7, v7, v74
	v_sub_f32_e32 v60, v3, v10
	v_dual_sub_f32 v50, v50, v55 :: v_dual_sub_f32 v69, v5, v12
	v_dual_add_f32 v70, v15, v5 :: v_dual_add_f32 v3, v4, v74
	v_dual_add_f32 v4, v6, v49 :: v_dual_add_f32 v49, v83, v72
	v_dual_sub_f32 v74, v85, v73 :: v_dual_add_f32 v5, v56, v55
	v_add_f32_e32 v55, v44, v85
	v_add_f32_e32 v56, v85, v73
	v_fma_f32 v21, -0.5, v47, v21
	v_add_f32_e32 v85, v53, v13
	v_dual_fmac_f32 v22, -0.5, v9 :: v_dual_add_f32 v89, v52, v48
	v_fma_f32 v19, -0.5, v59, v19
	v_dual_fmac_f32 v20, -0.5, v62 :: v_dual_add_f32 v67, v14, v11
	v_dual_sub_f32 v76, v11, v51 :: v_dual_add_f32 v11, v17, v81
	v_sub_f32_e32 v81, v81, v82
	v_add_f32_e32 v6, v61, v10
	v_add_f32_e32 v61, v45, v53
	;; [unrolled: 1-line block ×3, first 2 shown]
	v_fma_f32 v14, -0.5, v68, v14
	v_fmac_f32_e32 v15, -0.5, v75
	v_fma_f32 v17, -0.5, v77, v17
	v_dual_fmac_f32 v18, -0.5, v84 :: v_dual_add_f32 v87, v43, v83
	v_sub_f32_e32 v83, v83, v72
	v_sub_f32_e32 v88, v52, v48
	v_sub_f32_e32 v90, v53, v13
	v_fma_f32 v43, -0.5, v49, v43
	v_fmac_f32_e32 v44, -0.5, v56
	v_fma_f32 v45, -0.5, v85, v45
	v_dual_fmac_f32 v46, -0.5, v89 :: v_dual_fmamk_f32 v53, v54, 0xbf5db3d7, v21
	v_dual_fmac_f32 v21, 0x3f5db3d7, v54 :: v_dual_fmamk_f32 v54, v7, 0x3f5db3d7, v22
	v_fmac_f32_e32 v22, 0xbf5db3d7, v7
	v_dual_add_f32 v52, v55, v73 :: v_dual_fmamk_f32 v55, v60, 0xbf5db3d7, v19
	v_dual_fmamk_f32 v56, v50, 0x3f5db3d7, v20 :: v_dual_fmac_f32 v19, 0x3f5db3d7, v60
	v_fmac_f32_e32 v20, 0xbf5db3d7, v50
	v_dual_fmamk_f32 v50, v90, 0x3f5db3d7, v46 :: v_dual_add_f32 v9, v67, v51
	v_dual_add_f32 v10, v70, v12 :: v_dual_add_f32 v11, v11, v82
	v_dual_add_f32 v12, v86, v71 :: v_dual_add_f32 v47, v61, v13
	v_dual_add_f32 v48, v59, v48 :: v_dual_fmamk_f32 v59, v69, 0xbf5db3d7, v14
	v_fmac_f32_e32 v14, 0x3f5db3d7, v69
	v_fmamk_f32 v60, v76, 0x3f5db3d7, v15
	v_fmac_f32_e32 v15, 0xbf5db3d7, v76
	v_fmamk_f32 v61, v78, 0xbf5db3d7, v17
	v_dual_fmac_f32 v17, 0x3f5db3d7, v78 :: v_dual_fmamk_f32 v62, v81, 0x3f5db3d7, v18
	v_fmac_f32_e32 v18, 0xbf5db3d7, v81
	global_wb scope:SCOPE_SE
	s_barrier_signal -1
	s_barrier_wait -1
	global_inv scope:SCOPE_SE
	v_add_f32_e32 v51, v87, v72
	v_fmamk_f32 v67, v74, 0xbf5db3d7, v43
	v_dual_fmac_f32 v43, 0x3f5db3d7, v74 :: v_dual_fmamk_f32 v68, v83, 0x3f5db3d7, v44
	v_dual_fmac_f32 v44, 0xbf5db3d7, v83 :: v_dual_fmamk_f32 v49, v88, 0xbf5db3d7, v45
	v_fmac_f32_e32 v45, 0x3f5db3d7, v88
	v_fmac_f32_e32 v46, 0xbf5db3d7, v90
	ds_store_2addr_b64 v79, v[3:4], v[53:54] offset1:96
	ds_store_b64 v79, v[21:22] offset:1536
	ds_store_2addr_b64 v35, v[5:6], v[55:56] offset1:96
	ds_store_b64 v35, v[19:20] offset:1536
	ds_store_2addr_b64 v23, v[9:10], v[59:60] offset1:96
	ds_store_b64 v23, v[14:15] offset:1536
	ds_store_2addr_b64 v37, v[11:12], v[61:62] offset1:96
	ds_store_b64 v37, v[17:18] offset:1536
	ds_store_2addr_b64 v80, v[51:52], v[67:68] offset1:96
	ds_store_b64 v80, v[43:44] offset:1536
	ds_store_2addr_b64 v39, v[47:48], v[49:50] offset1:96
	ds_store_b64 v39, v[45:46] offset:1536
	global_wb scope:SCOPE_SE
	s_wait_dscnt 0x0
	s_barrier_signal -1
	s_barrier_wait -1
	global_inv scope:SCOPE_SE
	ds_load_2addr_b64 v[20:23], v0 offset0:32 offset1:144
	ds_load_2addr_b64 v[12:15], v1 offset0:64 offset1:176
	;; [unrolled: 1-line block ×6, first 2 shown]
	ds_load_b64 v[61:62], v33
	ds_load_b64 v[59:60], v66
                                        ; implicit-def: $vgpr52
                                        ; implicit-def: $vgpr56
                                        ; implicit-def: $vgpr54
	s_and_saveexec_b32 s1, s0
	s_cbranch_execz .LBB0_15
; %bb.14:
	ds_load_b64 v[47:48], v29 offset:4096
	ds_load_b64 v[49:50], v29 offset:6400
	;; [unrolled: 1-line block ×5, first 2 shown]
	ds_load_b64 v[43:44], v65
	ds_load_b64 v[55:56], v29 offset:15616
.LBB0_15:
	s_wait_alu 0xfffe
	s_or_b32 exec_lo, exec_lo, s1
	v_mul_i32_i24_e32 v57, 6, v28
	v_mul_u32_u24_e32 v35, 6, v26
	s_delay_alu instid0(VALU_DEP_2) | instskip(NEXT) | instid1(VALU_DEP_2)
	v_lshlrev_b64_e32 v[57:58], 3, v[57:58]
	v_lshlrev_b32_e32 v35, 3, v35
	s_clause 0x1
	global_load_b128 v[67:70], v35, s[8:9] offset:2288
	global_load_b128 v[71:74], v35, s[8:9] offset:2304
	v_add_co_u32 v57, s1, s8, v57
	global_load_b128 v[75:78], v35, s[8:9] offset:2320
	s_wait_alu 0xf1ff
	v_add_co_ci_u32_e64 v58, s1, s9, v58, s1
	s_clause 0x2
	global_load_b128 v[79:82], v[57:58], off offset:2288
	global_load_b128 v[83:86], v[57:58], off offset:2304
	;; [unrolled: 1-line block ×3, first 2 shown]
	global_wb scope:SCOPE_SE
	s_wait_loadcnt_dscnt 0x0
	s_barrier_signal -1
	s_barrier_wait -1
	global_inv scope:SCOPE_SE
	v_mul_f32_e32 v35, v68, v21
	v_mul_f32_e32 v37, v68, v20
	v_dual_mul_f32 v39, v70, v13 :: v_dual_mul_f32 v68, v72, v4
	v_dual_mul_f32 v57, v70, v12 :: v_dual_mul_f32 v58, v72, v5
	v_mul_f32_e32 v70, v74, v1
	v_mul_f32_e32 v72, v74, v0
	;; [unrolled: 1-line block ×3, first 2 shown]
	v_dual_mul_f32 v76, v76, v8 :: v_dual_mul_f32 v91, v78, v17
	v_mul_f32_e32 v78, v78, v16
	v_fmac_f32_e32 v35, v67, v20
	v_fma_f32 v20, v67, v21, -v37
	v_fmac_f32_e32 v39, v69, v12
	v_fma_f32 v12, v69, v13, -v57
	v_dual_fmac_f32 v58, v71, v4 :: v_dual_mul_f32 v13, v82, v15
	v_fma_f32 v4, v71, v5, -v68
	v_dual_fmac_f32 v70, v73, v0 :: v_dual_mul_f32 v37, v3, v86
	;; [unrolled: 2-line block ×4, first 2 shown]
	v_mul_f32_e32 v9, v80, v22
	v_fma_f32 v5, v77, v17, -v78
	v_dual_mul_f32 v16, v82, v14 :: v_dual_mul_f32 v17, v7, v84
	v_mul_f32_e32 v67, v11, v88
	v_dual_mul_f32 v68, v10, v88 :: v_dual_mul_f32 v69, v19, v90
	v_mul_f32_e32 v71, v18, v90
	v_dual_add_f32 v73, v20, v5 :: v_dual_fmac_f32 v8, v79, v22
	v_dual_sub_f32 v5, v20, v5 :: v_dual_add_f32 v20, v39, v74
	v_dual_mul_f32 v21, v6, v84 :: v_dual_add_f32 v72, v35, v91
	v_sub_f32_e32 v35, v35, v91
	v_dual_sub_f32 v39, v39, v74 :: v_dual_add_f32 v74, v4, v0
	v_sub_f32_e32 v0, v0, v4
	v_add_f32_e32 v75, v12, v1
	v_dual_sub_f32 v1, v12, v1 :: v_dual_add_f32 v12, v58, v70
	v_sub_f32_e32 v58, v70, v58
	v_fma_f32 v4, v79, v23, -v9
	v_dual_fmac_f32 v13, v81, v14 :: v_dual_sub_f32 v14, v20, v72
	v_fma_f32 v9, v81, v15, -v16
	v_dual_fmac_f32 v17, v6, v83 :: v_dual_sub_f32 v16, v72, v12
	v_fma_f32 v6, v7, v83, -v21
	v_fmac_f32_e32 v67, v10, v87
	v_fma_f32 v7, v19, v89, -v71
	v_dual_fmac_f32 v69, v18, v89 :: v_dual_add_f32 v10, v20, v72
	v_dual_sub_f32 v18, v73, v74 :: v_dual_fmac_f32 v37, v2, v85
	v_fma_f32 v2, v3, v85, -v57
	v_fma_f32 v3, v11, v87, -v68
	v_dual_sub_f32 v68, v5, v0 :: v_dual_add_f32 v21, v58, v39
	v_dual_sub_f32 v23, v58, v39 :: v_dual_sub_f32 v58, v35, v58
	v_add_f32_e32 v11, v75, v73
	v_sub_f32_e32 v15, v75, v73
	v_dual_sub_f32 v19, v12, v20 :: v_dual_sub_f32 v20, v74, v75
	v_sub_f32_e32 v70, v1, v5
	v_add_f32_e32 v22, v0, v1
	v_sub_f32_e32 v57, v0, v1
	v_sub_f32_e32 v39, v39, v35
	v_add_f32_e32 v1, v4, v7
	v_sub_f32_e32 v4, v4, v7
	v_add_f32_e32 v0, v8, v69
	v_dual_sub_f32 v8, v8, v69 :: v_dual_add_f32 v69, v9, v3
	v_sub_f32_e32 v3, v9, v3
	v_add_f32_e32 v9, v17, v37
	v_add_f32_e32 v7, v13, v67
	v_sub_f32_e32 v13, v13, v67
	v_add_f32_e32 v67, v6, v2
	v_sub_f32_e32 v2, v2, v6
	v_add_f32_e32 v6, v12, v10
	v_add_f32_e32 v10, v74, v11
	v_mul_f32_e32 v12, 0x3f4a47b2, v16
	v_dual_mul_f32 v16, 0x3f4a47b2, v18 :: v_dual_add_f32 v11, v21, v35
	v_dual_add_f32 v5, v22, v5 :: v_dual_mul_f32 v18, 0x3d64c772, v19
	v_dual_mul_f32 v22, 0x3f08b237, v23 :: v_dual_mul_f32 v23, 0x3f08b237, v57
	v_sub_f32_e32 v17, v37, v17
	v_sub_f32_e32 v74, v0, v9
	v_dual_sub_f32 v72, v7, v0 :: v_dual_sub_f32 v75, v1, v67
	v_dual_add_f32 v57, v7, v0 :: v_dual_sub_f32 v80, v4, v2
	v_dual_mul_f32 v21, 0x3d64c772, v20 :: v_dual_add_f32 v0, v61, v6
	v_dual_sub_f32 v73, v69, v1 :: v_dual_fmamk_f32 v20, v20, 0x3d64c772, v16
	v_add_f32_e32 v77, v2, v3
	v_sub_f32_e32 v79, v2, v3
	v_add_f32_e32 v71, v69, v1
	v_add_f32_e32 v1, v62, v10
	v_sub_f32_e32 v7, v9, v7
	v_fma_f32 v18, 0x3f3bfb3b, v14, -v18
	v_fmamk_f32 v6, v6, 0xbf955555, v0
	v_fmamk_f32 v19, v19, 0x3d64c772, v12
	v_fma_f32 v12, 0xbf3bfb3b, v14, -v12
	v_fma_f32 v14, 0xbf3bfb3b, v15, -v16
	v_dual_fmamk_f32 v10, v10, 0xbf955555, v1 :: v_dual_sub_f32 v81, v3, v4
	v_add_f32_e32 v4, v77, v4
	v_fmamk_f32 v16, v68, 0xbeae86e6, v23
	v_add_f32_e32 v76, v17, v13
	s_delay_alu instid0(VALU_DEP_4)
	v_dual_add_f32 v20, v20, v10 :: v_dual_mul_f32 v35, 0xbf5ff5aa, v39
	v_sub_f32_e32 v78, v17, v13
	v_sub_f32_e32 v17, v8, v17
	;; [unrolled: 1-line block ×3, first 2 shown]
	v_mul_f32_e32 v37, 0xbf5ff5aa, v70
	v_fma_f32 v21, 0x3f3bfb3b, v15, -v21
	v_add_f32_e32 v8, v76, v8
	v_fmac_f32_e32 v16, 0xbee1c552, v5
	v_add_f32_e32 v12, v12, v6
	v_add_f32_e32 v19, v19, v6
	v_fmamk_f32 v15, v58, 0xbeae86e6, v22
	v_fma_f32 v22, 0xbf5ff5aa, v39, -v22
	v_sub_f32_e32 v69, v67, v69
	v_fma_f32 v23, 0xbf5ff5aa, v70, -v23
	v_fma_f32 v35, 0x3eae86e6, v58, -v35
	v_mul_f32_e32 v70, 0xbf5ff5aa, v13
	v_fmac_f32_e32 v22, 0xbee1c552, v11
	v_fma_f32 v37, 0x3eae86e6, v68, -v37
	v_mul_f32_e32 v62, 0x3d64c772, v69
	v_dual_mul_f32 v58, 0x3f4a47b2, v75 :: v_dual_add_f32 v9, v9, v57
	s_delay_alu instid0(VALU_DEP_3) | instskip(SKIP_1) | instid1(VALU_DEP_3)
	v_dual_add_f32 v14, v14, v10 :: v_dual_fmac_f32 v37, 0xbee1c552, v5
	v_mul_f32_e32 v57, 0x3f4a47b2, v74
	v_dual_mul_f32 v61, 0x3d64c772, v7 :: v_dual_add_f32 v2, v59, v9
	v_mul_f32_e32 v68, 0x3f08b237, v79
	v_fma_f32 v62, 0x3f3bfb3b, v73, -v62
	s_delay_alu instid0(VALU_DEP_4) | instskip(NEXT) | instid1(VALU_DEP_4)
	v_fmamk_f32 v59, v7, 0x3d64c772, v57
	v_fma_f32 v61, 0x3f3bfb3b, v72, -v61
	v_fma_f32 v57, 0xbf3bfb3b, v72, -v57
	v_fmamk_f32 v72, v80, 0xbeae86e6, v68
	v_fma_f32 v68, 0xbf5ff5aa, v81, -v68
	v_add_f32_e32 v39, v67, v71
	s_delay_alu instid0(VALU_DEP_3) | instskip(NEXT) | instid1(VALU_DEP_3)
	v_dual_fmac_f32 v23, 0xbee1c552, v5 :: v_dual_fmac_f32 v72, 0xbee1c552, v4
	v_fmac_f32_e32 v68, 0xbee1c552, v4
	v_mul_f32_e32 v67, 0x3f08b237, v78
	v_mul_f32_e32 v71, 0xbf5ff5aa, v81
	v_dual_add_f32 v3, v60, v39 :: v_dual_fmamk_f32 v60, v69, 0x3d64c772, v58
	v_fma_f32 v58, 0xbf3bfb3b, v73, -v58
	s_delay_alu instid0(VALU_DEP_4)
	v_fmamk_f32 v69, v17, 0xbeae86e6, v67
	v_fma_f32 v17, 0x3eae86e6, v17, -v70
	v_fma_f32 v70, 0x3eae86e6, v80, -v71
	v_fmac_f32_e32 v35, 0xbee1c552, v11
	v_fma_f32 v67, 0xbf5ff5aa, v13, -v67
	v_add_f32_e32 v13, v21, v10
	v_fmac_f32_e32 v17, 0xbee1c552, v8
	v_fmac_f32_e32 v70, 0xbee1c552, v4
	v_add_f32_e32 v4, v16, v19
	v_fmac_f32_e32 v15, 0xbee1c552, v11
	v_dual_add_f32 v11, v18, v6 :: v_dual_fmamk_f32 v18, v9, 0xbf955555, v2
	v_fmac_f32_e32 v69, 0xbee1c552, v8
	v_fmac_f32_e32 v67, 0xbee1c552, v8
	v_sub_f32_e32 v7, v14, v35
	s_delay_alu instid0(VALU_DEP_4)
	v_dual_sub_f32 v8, v11, v23 :: v_dual_add_f32 v9, v22, v13
	v_dual_add_f32 v10, v23, v11 :: v_dual_sub_f32 v11, v13, v22
	v_add_f32_e32 v13, v35, v14
	v_dual_sub_f32 v14, v19, v16 :: v_dual_sub_f32 v5, v20, v15
	v_dual_add_f32 v15, v15, v20 :: v_dual_add_f32 v20, v61, v18
	v_fmamk_f32 v21, v39, 0xbf955555, v3
	s_delay_alu instid0(VALU_DEP_1)
	v_add_f32_e32 v22, v62, v21
	v_add_f32_e32 v16, v59, v18
	v_dual_add_f32 v18, v57, v18 :: v_dual_add_f32 v19, v60, v21
	v_dual_add_f32 v21, v58, v21 :: v_dual_add_f32 v6, v37, v12
	v_sub_f32_e32 v12, v12, v37
	ds_store_b64 v29, v[0:1]
	ds_store_b64 v29, v[4:5] offset:2304
	ds_store_b64 v29, v[6:7] offset:4608
	;; [unrolled: 1-line block ×6, first 2 shown]
	v_add_f32_e32 v0, v72, v16
	v_dual_add_f32 v4, v70, v18 :: v_dual_sub_f32 v1, v19, v69
	v_dual_sub_f32 v5, v21, v17 :: v_dual_sub_f32 v6, v20, v68
	v_sub_f32_e32 v10, v18, v70
	v_dual_add_f32 v7, v67, v22 :: v_dual_add_f32 v8, v68, v20
	v_sub_f32_e32 v9, v22, v67
	v_dual_add_f32 v11, v17, v21 :: v_dual_sub_f32 v12, v16, v72
	v_add_f32_e32 v13, v69, v19
	ds_store_b64 v66, v[2:3]
	ds_store_b64 v66, v[0:1] offset:2304
	ds_store_b64 v66, v[4:5] offset:4608
	;; [unrolled: 1-line block ×6, first 2 shown]
	s_and_saveexec_b32 s1, s0
	s_cbranch_execz .LBB0_17
; %bb.16:
	v_subrev_nc_u32_e32 v0, 64, v26
	v_mov_b32_e32 v1, 0
	s_delay_alu instid0(VALU_DEP_2) | instskip(NEXT) | instid1(VALU_DEP_1)
	v_cndmask_b32_e64 v0, v0, v42, s0
	v_mul_i32_i24_e32 v0, 6, v0
	s_delay_alu instid0(VALU_DEP_1) | instskip(NEXT) | instid1(VALU_DEP_1)
	v_lshlrev_b64_e32 v[0:1], 3, v[0:1]
	v_add_co_u32 v8, s0, s8, v0
	s_wait_alu 0xf1ff
	s_delay_alu instid0(VALU_DEP_2)
	v_add_co_ci_u32_e64 v9, s0, s9, v1, s0
	s_clause 0x2
	global_load_b128 v[0:3], v[8:9], off offset:2288
	global_load_b128 v[4:7], v[8:9], off offset:2320
	;; [unrolled: 1-line block ×3, first 2 shown]
	s_wait_loadcnt 0x2
	v_mul_f32_e32 v12, v48, v1
	s_wait_loadcnt 0x1
	v_mul_f32_e32 v13, v56, v7
	v_dual_mul_f32 v16, v50, v3 :: v_dual_mul_f32 v1, v47, v1
	v_mul_f32_e32 v17, v54, v5
	v_mul_f32_e32 v7, v55, v7
	s_wait_loadcnt 0x0
	v_mul_f32_e32 v14, v52, v11
	v_dual_fmac_f32 v16, v49, v2 :: v_dual_mul_f32 v15, v46, v9
	v_fmac_f32_e32 v12, v47, v0
	v_fmac_f32_e32 v13, v55, v6
	;; [unrolled: 1-line block ×3, first 2 shown]
	v_mul_f32_e32 v11, v51, v11
	v_fma_f32 v6, v56, v6, -v7
	v_fma_f32 v0, v48, v0, -v1
	v_dual_mul_f32 v9, v45, v9 :: v_dual_fmac_f32 v14, v51, v10
	v_fmac_f32_e32 v15, v45, v8
	s_delay_alu instid0(VALU_DEP_2) | instskip(SKIP_2) | instid1(VALU_DEP_1)
	v_fma_f32 v1, v46, v8, -v9
	v_sub_f32_e32 v8, v16, v17
	v_fma_f32 v7, v52, v10, -v11
	v_add_f32_e32 v10, v1, v7
	v_mul_f32_e32 v3, v49, v3
	v_sub_f32_e32 v1, v7, v1
	s_delay_alu instid0(VALU_DEP_2) | instskip(SKIP_1) | instid1(VALU_DEP_1)
	v_fma_f32 v2, v50, v2, -v3
	v_mul_f32_e32 v5, v53, v5
	v_fma_f32 v4, v54, v4, -v5
	s_delay_alu instid0(VALU_DEP_1) | instskip(SKIP_2) | instid1(VALU_DEP_1)
	v_add_f32_e32 v11, v2, v4
	v_dual_sub_f32 v2, v2, v4 :: v_dual_add_f32 v9, v0, v6
	v_sub_f32_e32 v0, v0, v6
	v_dual_sub_f32 v21, v1, v2 :: v_dual_sub_f32 v20, v0, v1
	v_dual_add_f32 v1, v1, v2 :: v_dual_sub_f32 v2, v2, v0
	v_sub_f32_e32 v5, v14, v15
	v_sub_f32_e32 v3, v12, v13
	v_dual_add_f32 v12, v12, v13 :: v_dual_add_f32 v13, v15, v14
	s_delay_alu instid0(VALU_DEP_3) | instskip(NEXT) | instid1(VALU_DEP_3)
	v_sub_f32_e32 v6, v5, v8
	v_sub_f32_e32 v4, v3, v5
	v_add_f32_e32 v14, v16, v17
	s_delay_alu instid0(VALU_DEP_3) | instskip(NEXT) | instid1(VALU_DEP_2)
	v_mul_f32_e32 v6, 0x3f08b237, v6
	v_sub_f32_e32 v18, v13, v14
	v_dual_add_f32 v16, v11, v9 :: v_dual_add_f32 v5, v5, v8
	v_sub_f32_e32 v7, v9, v10
	v_sub_f32_e32 v15, v10, v11
	v_dual_add_f32 v19, v14, v12 :: v_dual_sub_f32 v8, v8, v3
	s_delay_alu instid0(VALU_DEP_4) | instskip(SKIP_4) | instid1(VALU_DEP_4)
	v_dual_sub_f32 v17, v12, v13 :: v_dual_add_f32 v10, v10, v16
	v_mul_f32_e32 v16, 0x3f08b237, v21
	v_mul_f32_e32 v21, 0xbf5ff5aa, v2
	v_dual_fmamk_f32 v22, v4, 0xbeae86e6, v6 :: v_dual_sub_f32 v9, v11, v9
	v_fma_f32 v6, 0xbf5ff5aa, v8, -v6
	v_fmamk_f32 v23, v20, 0xbeae86e6, v16
	s_delay_alu instid0(VALU_DEP_4)
	v_fma_f32 v20, 0x3eae86e6, v20, -v21
	v_add_f32_e32 v13, v13, v19
	v_dual_sub_f32 v11, v14, v12 :: v_dual_mul_f32 v12, 0x3f4a47b2, v17
	v_add_f32_e32 v17, v1, v0
	v_fma_f32 v16, 0xbf5ff5aa, v2, -v16
	v_add_f32_e32 v1, v44, v10
	v_add_f32_e32 v3, v5, v3
	v_mul_f32_e32 v19, 0xbf5ff5aa, v8
	v_mul_f32_e32 v14, 0x3d64c772, v18
	v_fmamk_f32 v18, v18, 0x3d64c772, v12
	v_fmamk_f32 v8, v10, 0xbf955555, v1
	v_mul_f32_e32 v5, 0x3f4a47b2, v7
	v_mul_f32_e32 v7, 0x3d64c772, v15
	v_fmac_f32_e32 v6, 0xbee1c552, v3
	v_fmac_f32_e32 v20, 0xbee1c552, v17
	v_add_f32_e32 v0, v43, v13
	v_fmac_f32_e32 v23, 0xbee1c552, v17
	v_fmamk_f32 v15, v15, 0x3d64c772, v5
	v_fma_f32 v19, 0x3eae86e6, v4, -v19
	v_fmac_f32_e32 v22, 0xbee1c552, v3
	v_fma_f32 v7, 0x3f3bfb3b, v9, -v7
	v_fma_f32 v2, 0x3f3bfb3b, v11, -v14
	v_add_f32_e32 v10, v15, v8
	v_fma_f32 v4, 0xbf3bfb3b, v9, -v5
	v_fmamk_f32 v9, v13, 0xbf955555, v0
	v_fma_f32 v5, 0xbf3bfb3b, v11, -v12
	s_delay_alu instid0(VALU_DEP_4) | instskip(NEXT) | instid1(VALU_DEP_3)
	v_dual_fmac_f32 v16, 0xbee1c552, v17 :: v_dual_sub_f32 v13, v10, v22
	v_dual_add_f32 v11, v4, v8 :: v_dual_add_f32 v12, v18, v9
	v_dual_add_f32 v8, v7, v8 :: v_dual_add_f32 v15, v2, v9
	v_fmac_f32_e32 v19, 0xbee1c552, v3
	s_delay_alu instid0(VALU_DEP_3) | instskip(SKIP_1) | instid1(VALU_DEP_4)
	v_dual_add_f32 v3, v22, v10 :: v_dual_sub_f32 v2, v12, v23
	v_add_f32_e32 v12, v23, v12
	v_dual_add_f32 v14, v5, v9 :: v_dual_sub_f32 v7, v8, v6
	v_dual_add_f32 v9, v6, v8 :: v_dual_add_f32 v6, v16, v15
	v_sub_f32_e32 v8, v15, v16
	v_add_f32_e32 v5, v19, v11
	s_delay_alu instid0(VALU_DEP_4)
	v_dual_sub_f32 v11, v11, v19 :: v_dual_add_f32 v10, v20, v14
	v_sub_f32_e32 v4, v14, v20
	ds_store_b64 v29, v[0:1] offset:1792
	ds_store_b64 v29, v[12:13] offset:4096
	;; [unrolled: 1-line block ×7, first 2 shown]
.LBB0_17:
	s_wait_alu 0xfffe
	s_or_b32 exec_lo, exec_lo, s1
	global_wb scope:SCOPE_SE
	s_wait_dscnt 0x0
	s_barrier_signal -1
	s_barrier_wait -1
	global_inv scope:SCOPE_SE
	ds_load_b64 v[2:3], v33
	v_sub_nc_u32_e32 v4, v63, v27
	s_mov_b32 s1, exec_lo
                                        ; implicit-def: $vgpr0
                                        ; implicit-def: $vgpr5
                                        ; implicit-def: $vgpr6
	v_cmpx_ne_u32_e32 0, v26
	s_wait_alu 0xfffe
	s_xor_b32 s1, exec_lo, s1
	s_cbranch_execz .LBB0_19
; %bb.18:
	v_mov_b32_e32 v27, 0
	s_delay_alu instid0(VALU_DEP_1) | instskip(NEXT) | instid1(VALU_DEP_1)
	v_lshlrev_b64_e32 v[0:1], 3, v[26:27]
	v_add_co_u32 v0, s0, s8, v0
	s_wait_alu 0xf1ff
	s_delay_alu instid0(VALU_DEP_2)
	v_add_co_ci_u32_e64 v1, s0, s9, v1, s0
	global_load_b64 v[7:8], v[0:1], off offset:16112
	ds_load_b64 v[0:1], v4 offset:16128
	s_wait_dscnt 0x0
	v_dual_add_f32 v6, v1, v3 :: v_dual_sub_f32 v5, v2, v0
	v_dual_add_f32 v0, v0, v2 :: v_dual_sub_f32 v1, v3, v1
	s_delay_alu instid0(VALU_DEP_2) | instskip(SKIP_1) | instid1(VALU_DEP_1)
	v_dual_mul_f32 v2, 0.5, v6 :: v_dual_mul_f32 v3, 0.5, v5
	s_wait_loadcnt 0x0
	v_dual_mul_f32 v1, 0.5, v1 :: v_dual_mul_f32 v6, v8, v3
	s_delay_alu instid0(VALU_DEP_1) | instskip(SKIP_1) | instid1(VALU_DEP_3)
	v_fma_f32 v9, v2, v8, v1
	v_fma_f32 v1, v2, v8, -v1
	v_fma_f32 v5, 0.5, v0, v6
	v_fma_f32 v0, v0, 0.5, -v6
	s_delay_alu instid0(VALU_DEP_4) | instskip(NEXT) | instid1(VALU_DEP_4)
	v_fma_f32 v6, -v7, v3, v9
	v_fma_f32 v1, -v7, v3, v1
	s_delay_alu instid0(VALU_DEP_4) | instskip(NEXT) | instid1(VALU_DEP_4)
	v_fmac_f32_e32 v5, v7, v2
	v_fma_f32 v0, -v7, v2, v0
                                        ; implicit-def: $vgpr2_vgpr3
.LBB0_19:
	s_wait_alu 0xfffe
	s_and_not1_saveexec_b32 s0, s1
	s_cbranch_execz .LBB0_21
; %bb.20:
	ds_load_b32 v1, v63 offset:8068
	s_wait_dscnt 0x1
	v_dual_add_f32 v5, v2, v3 :: v_dual_mov_b32 v6, 0
	v_sub_f32_e32 v0, v2, v3
	s_wait_dscnt 0x0
	v_xor_b32_e32 v2, 0x80000000, v1
	v_mov_b32_e32 v1, 0
	ds_store_b32 v63, v2 offset:8068
.LBB0_21:
	s_wait_alu 0xfffe
	s_or_b32 exec_lo, exec_lo, s0
	v_mov_b32_e32 v29, 0
	s_wait_dscnt 0x0
	s_delay_alu instid0(VALU_DEP_1) | instskip(SKIP_2) | instid1(VALU_DEP_2)
	v_lshlrev_b64_e32 v[2:3], 3, v[28:29]
	v_mov_b32_e32 v43, v29
	v_mov_b32_e32 v39, v29
	v_lshlrev_b64_e32 v[7:8], 3, v[42:43]
	s_delay_alu instid0(VALU_DEP_4) | instskip(SKIP_3) | instid1(VALU_DEP_4)
	v_add_co_u32 v2, s0, s8, v2
	s_wait_alu 0xf1ff
	v_add_co_ci_u32_e64 v3, s0, s9, v3, s0
	v_mov_b32_e32 v42, v29
	v_add_co_u32 v7, s0, s8, v7
	global_load_b64 v[2:3], v[2:3], off offset:16112
	s_wait_alu 0xf1ff
	v_add_co_ci_u32_e64 v8, s0, s9, v8, s0
	v_lshlrev_b64_e32 v[9:10], 3, v[41:42]
	v_mov_b32_e32 v41, v29
	v_lshlrev_b64_e32 v[13:14], 3, v[38:39]
	global_load_b64 v[7:8], v[7:8], off offset:16112
	v_add_co_u32 v9, s0, s8, v9
	s_wait_alu 0xf1ff
	v_add_co_ci_u32_e64 v10, s0, s9, v10, s0
	v_lshlrev_b64_e32 v[11:12], 3, v[40:41]
	global_load_b64 v[9:10], v[9:10], off offset:16112
	v_add_co_u32 v11, s0, s8, v11
	s_wait_alu 0xf1ff
	v_add_co_ci_u32_e64 v12, s0, s9, v12, s0
	v_add_co_u32 v13, s0, s8, v13
	s_wait_alu 0xf1ff
	v_add_co_ci_u32_e64 v14, s0, s9, v14, s0
	global_load_b64 v[11:12], v[11:12], off offset:16112
	v_mov_b32_e32 v37, v29
	global_load_b64 v[13:14], v[13:14], off offset:16112
	v_lshlrev_b64_e32 v[15:16], 3, v[36:37]
	s_delay_alu instid0(VALU_DEP_1) | instskip(SKIP_1) | instid1(VALU_DEP_2)
	v_add_co_u32 v15, s0, s8, v15
	s_wait_alu 0xf1ff
	v_add_co_ci_u32_e64 v16, s0, s9, v16, s0
	global_load_b64 v[15:16], v[15:16], off offset:16112
	ds_store_2addr_b32 v33, v5, v6 offset1:1
	ds_store_b64 v4, v[0:1] offset:16128
	ds_load_b64 v[0:1], v66
	ds_load_b64 v[5:6], v4 offset:15232
	s_wait_dscnt 0x0
	v_add_f32_e32 v20, v1, v6
	v_mov_b32_e32 v35, v29
	v_sub_f32_e32 v19, v0, v5
	v_sub_f32_e32 v1, v1, v6
	v_mov_b32_e32 v33, v29
	v_add_f32_e32 v5, v0, v5
	v_lshlrev_b64_e32 v[17:18], 3, v[34:35]
	v_dual_mul_f32 v6, 0.5, v19 :: v_dual_mul_f32 v19, 0.5, v20
	v_mul_f32_e32 v20, 0.5, v1
	v_lshlrev_b64_e32 v[0:1], 3, v[32:33]
	s_delay_alu instid0(VALU_DEP_4) | instskip(SKIP_2) | instid1(VALU_DEP_3)
	v_add_co_u32 v17, s0, s8, v17
	s_wait_alu 0xf1ff
	v_add_co_ci_u32_e64 v18, s0, s9, v18, s0
	v_add_co_u32 v0, s0, s8, v0
	s_wait_alu 0xf1ff
	v_add_co_ci_u32_e64 v1, s0, s9, v1, s0
	s_clause 0x1
	global_load_b64 v[17:18], v[17:18], off offset:16112
	global_load_b64 v[0:1], v[0:1], off offset:16112
	s_wait_loadcnt 0x7
	v_mul_f32_e32 v21, v3, v6
	v_fma_f32 v22, v19, v3, v20
	v_fma_f32 v3, v19, v3, -v20
	s_delay_alu instid0(VALU_DEP_3) | instskip(SKIP_1) | instid1(VALU_DEP_4)
	v_fma_f32 v20, 0.5, v5, v21
	v_fma_f32 v5, v5, 0.5, -v21
	v_fma_f32 v21, -v2, v6, v22
	s_delay_alu instid0(VALU_DEP_4) | instskip(NEXT) | instid1(VALU_DEP_4)
	v_fma_f32 v3, -v2, v6, v3
	v_fmac_f32_e32 v20, v2, v19
	s_delay_alu instid0(VALU_DEP_4)
	v_fma_f32 v2, -v2, v19, v5
	ds_store_2addr_b32 v66, v20, v21 offset1:1
	ds_store_b64 v4, v[2:3] offset:15232
	ds_load_b64 v[2:3], v65
	ds_load_b64 v[5:6], v4 offset:14336
	s_wait_dscnt 0x0
	v_dual_sub_f32 v19, v2, v5 :: v_dual_add_f32 v20, v3, v6
	v_dual_sub_f32 v3, v3, v6 :: v_dual_add_f32 v2, v2, v5
	s_delay_alu instid0(VALU_DEP_2) | instskip(NEXT) | instid1(VALU_DEP_2)
	v_dual_mul_f32 v6, 0.5, v19 :: v_dual_mul_f32 v19, 0.5, v20
	v_mul_f32_e32 v3, 0.5, v3
	s_wait_loadcnt 0x6
	s_delay_alu instid0(VALU_DEP_2) | instskip(NEXT) | instid1(VALU_DEP_2)
	v_mul_f32_e32 v5, v8, v6
	v_fma_f32 v20, v19, v8, v3
	v_fma_f32 v3, v19, v8, -v3
	s_delay_alu instid0(VALU_DEP_3) | instskip(SKIP_1) | instid1(VALU_DEP_4)
	v_fma_f32 v8, 0.5, v2, v5
	v_fma_f32 v2, v2, 0.5, -v5
	v_fma_f32 v5, -v7, v6, v20
	s_delay_alu instid0(VALU_DEP_4) | instskip(NEXT) | instid1(VALU_DEP_4)
	v_fma_f32 v3, -v7, v6, v3
	v_fmac_f32_e32 v8, v7, v19
	s_delay_alu instid0(VALU_DEP_4)
	v_fma_f32 v2, -v7, v19, v2
	ds_store_2addr_b32 v65, v8, v5 offset1:1
	ds_store_b64 v4, v[2:3] offset:14336
	ds_load_b64 v[2:3], v64
	ds_load_b64 v[5:6], v4 offset:13440
	s_wait_dscnt 0x0
	v_dual_sub_f32 v7, v2, v5 :: v_dual_add_f32 v8, v3, v6
	v_dual_sub_f32 v3, v3, v6 :: v_dual_add_f32 v2, v2, v5
	s_delay_alu instid0(VALU_DEP_2) | instskip(NEXT) | instid1(VALU_DEP_2)
	v_dual_mul_f32 v6, 0.5, v7 :: v_dual_mul_f32 v7, 0.5, v8
	v_mul_f32_e32 v3, 0.5, v3
	s_wait_loadcnt 0x5
	s_delay_alu instid0(VALU_DEP_2) | instskip(NEXT) | instid1(VALU_DEP_2)
	v_mul_f32_e32 v5, v10, v6
	v_fma_f32 v8, v7, v10, v3
	v_fma_f32 v3, v7, v10, -v3
	s_delay_alu instid0(VALU_DEP_3) | instskip(SKIP_1) | instid1(VALU_DEP_4)
	v_fma_f32 v10, 0.5, v2, v5
	v_fma_f32 v2, v2, 0.5, -v5
	v_fma_f32 v5, -v9, v6, v8
	s_delay_alu instid0(VALU_DEP_4) | instskip(NEXT) | instid1(VALU_DEP_4)
	v_fma_f32 v3, -v9, v6, v3
	v_fmac_f32_e32 v10, v9, v7
	s_delay_alu instid0(VALU_DEP_4)
	v_fma_f32 v2, -v9, v7, v2
	v_lshl_add_u32 v7, v40, 3, v63
	ds_store_2addr_b32 v64, v10, v5 offset1:1
	ds_store_b64 v4, v[2:3] offset:13440
	ds_load_b64 v[2:3], v7
	ds_load_b64 v[5:6], v4 offset:12544
	s_wait_dscnt 0x0
	v_dual_sub_f32 v8, v2, v5 :: v_dual_add_f32 v9, v3, v6
	v_dual_sub_f32 v3, v3, v6 :: v_dual_add_f32 v2, v2, v5
	s_delay_alu instid0(VALU_DEP_2) | instskip(NEXT) | instid1(VALU_DEP_2)
	v_mul_f32_e32 v6, 0.5, v8
	v_dual_mul_f32 v8, 0.5, v9 :: v_dual_mul_f32 v3, 0.5, v3
	s_wait_loadcnt 0x4
	s_delay_alu instid0(VALU_DEP_2) | instskip(NEXT) | instid1(VALU_DEP_2)
	v_mul_f32_e32 v5, v12, v6
	v_fma_f32 v9, v8, v12, v3
	v_fma_f32 v3, v8, v12, -v3
	s_delay_alu instid0(VALU_DEP_3) | instskip(SKIP_1) | instid1(VALU_DEP_4)
	v_fma_f32 v10, 0.5, v2, v5
	v_fma_f32 v2, v2, 0.5, -v5
	v_fma_f32 v5, -v11, v6, v9
	s_delay_alu instid0(VALU_DEP_4) | instskip(NEXT) | instid1(VALU_DEP_4)
	v_fma_f32 v3, -v11, v6, v3
	v_fmac_f32_e32 v10, v11, v8
	s_delay_alu instid0(VALU_DEP_4)
	v_fma_f32 v2, -v11, v8, v2
	v_lshl_add_u32 v8, v38, 3, v63
	ds_store_2addr_b32 v7, v10, v5 offset1:1
	ds_store_b64 v4, v[2:3] offset:12544
	ds_load_b64 v[2:3], v8
	ds_load_b64 v[5:6], v4 offset:11648
	s_wait_dscnt 0x0
	v_sub_f32_e32 v7, v2, v5
	v_add_f32_e32 v9, v3, v6
	v_dual_sub_f32 v3, v3, v6 :: v_dual_add_f32 v2, v2, v5
	s_delay_alu instid0(VALU_DEP_2) | instskip(NEXT) | instid1(VALU_DEP_2)
	v_dual_mul_f32 v6, 0.5, v7 :: v_dual_mul_f32 v7, 0.5, v9
	v_mul_f32_e32 v3, 0.5, v3
	s_wait_loadcnt 0x3
	s_delay_alu instid0(VALU_DEP_2) | instskip(NEXT) | instid1(VALU_DEP_2)
	v_mul_f32_e32 v5, v14, v6
	v_fma_f32 v9, v7, v14, v3
	v_fma_f32 v3, v7, v14, -v3
	s_delay_alu instid0(VALU_DEP_3) | instskip(SKIP_1) | instid1(VALU_DEP_4)
	v_fma_f32 v10, 0.5, v2, v5
	v_fma_f32 v2, v2, 0.5, -v5
	v_fma_f32 v5, -v13, v6, v9
	s_delay_alu instid0(VALU_DEP_4) | instskip(NEXT) | instid1(VALU_DEP_4)
	v_fma_f32 v3, -v13, v6, v3
	v_fmac_f32_e32 v10, v13, v7
	s_delay_alu instid0(VALU_DEP_4)
	v_fma_f32 v2, -v13, v7, v2
	v_lshl_add_u32 v7, v36, 3, v63
	ds_store_2addr_b32 v8, v10, v5 offset1:1
	ds_store_b64 v4, v[2:3] offset:11648
	ds_load_b64 v[2:3], v7
	ds_load_b64 v[5:6], v4 offset:10752
	s_wait_dscnt 0x0
	v_dual_sub_f32 v8, v2, v5 :: v_dual_add_f32 v9, v3, v6
	v_dual_sub_f32 v3, v3, v6 :: v_dual_add_f32 v2, v2, v5
	s_delay_alu instid0(VALU_DEP_2) | instskip(NEXT) | instid1(VALU_DEP_2)
	v_mul_f32_e32 v6, 0.5, v8
	v_dual_mul_f32 v8, 0.5, v9 :: v_dual_mul_f32 v3, 0.5, v3
	s_wait_loadcnt 0x2
	s_delay_alu instid0(VALU_DEP_2) | instskip(NEXT) | instid1(VALU_DEP_2)
	v_mul_f32_e32 v5, v16, v6
	v_fma_f32 v9, v8, v16, v3
	v_fma_f32 v3, v8, v16, -v3
	s_delay_alu instid0(VALU_DEP_3) | instskip(SKIP_1) | instid1(VALU_DEP_4)
	v_fma_f32 v10, 0.5, v2, v5
	v_fma_f32 v2, v2, 0.5, -v5
	v_fma_f32 v5, -v15, v6, v9
	s_delay_alu instid0(VALU_DEP_4) | instskip(NEXT) | instid1(VALU_DEP_4)
	v_fma_f32 v3, -v15, v6, v3
	v_fmac_f32_e32 v10, v15, v8
	s_delay_alu instid0(VALU_DEP_4)
	v_fma_f32 v2, -v15, v8, v2
	v_lshl_add_u32 v8, v34, 3, v63
	ds_store_2addr_b32 v7, v10, v5 offset1:1
	ds_store_b64 v4, v[2:3] offset:10752
	ds_load_b64 v[2:3], v8
	ds_load_b64 v[5:6], v4 offset:9856
	s_wait_dscnt 0x0
	v_sub_f32_e32 v7, v2, v5
	v_add_f32_e32 v9, v3, v6
	v_dual_sub_f32 v3, v3, v6 :: v_dual_add_f32 v2, v2, v5
	s_delay_alu instid0(VALU_DEP_2) | instskip(NEXT) | instid1(VALU_DEP_2)
	v_dual_mul_f32 v6, 0.5, v7 :: v_dual_mul_f32 v7, 0.5, v9
	v_mul_f32_e32 v3, 0.5, v3
	s_wait_loadcnt 0x1
	s_delay_alu instid0(VALU_DEP_2) | instskip(NEXT) | instid1(VALU_DEP_2)
	v_mul_f32_e32 v5, v18, v6
	v_fma_f32 v9, v7, v18, v3
	v_fma_f32 v3, v7, v18, -v3
	s_delay_alu instid0(VALU_DEP_3) | instskip(SKIP_1) | instid1(VALU_DEP_4)
	v_fma_f32 v10, 0.5, v2, v5
	v_fma_f32 v2, v2, 0.5, -v5
	v_fma_f32 v5, -v17, v6, v9
	s_delay_alu instid0(VALU_DEP_4) | instskip(NEXT) | instid1(VALU_DEP_4)
	v_fma_f32 v3, -v17, v6, v3
	v_fmac_f32_e32 v10, v17, v7
	s_delay_alu instid0(VALU_DEP_4)
	v_fma_f32 v2, -v17, v7, v2
	v_lshl_add_u32 v7, v32, 3, v63
	ds_store_2addr_b32 v8, v10, v5 offset1:1
	ds_store_b64 v4, v[2:3] offset:9856
	ds_load_b64 v[2:3], v7
	ds_load_b64 v[5:6], v4 offset:8960
	s_wait_dscnt 0x0
	v_dual_sub_f32 v8, v2, v5 :: v_dual_add_f32 v9, v3, v6
	v_dual_sub_f32 v3, v3, v6 :: v_dual_add_f32 v2, v2, v5
	s_delay_alu instid0(VALU_DEP_2) | instskip(NEXT) | instid1(VALU_DEP_2)
	v_mul_f32_e32 v6, 0.5, v8
	v_dual_mul_f32 v8, 0.5, v9 :: v_dual_mul_f32 v3, 0.5, v3
	s_wait_loadcnt 0x0
	s_delay_alu instid0(VALU_DEP_2) | instskip(NEXT) | instid1(VALU_DEP_2)
	v_mul_f32_e32 v5, v1, v6
	v_fma_f32 v9, v8, v1, v3
	v_fma_f32 v1, v8, v1, -v3
	s_delay_alu instid0(VALU_DEP_3) | instskip(SKIP_1) | instid1(VALU_DEP_4)
	v_fma_f32 v3, 0.5, v2, v5
	v_fma_f32 v2, v2, 0.5, -v5
	v_fma_f32 v5, -v0, v6, v9
	s_delay_alu instid0(VALU_DEP_4) | instskip(NEXT) | instid1(VALU_DEP_4)
	v_fma_f32 v1, -v0, v6, v1
	v_fmac_f32_e32 v3, v0, v8
	s_delay_alu instid0(VALU_DEP_4)
	v_fma_f32 v0, -v0, v8, v2
	ds_store_2addr_b32 v7, v3, v5 offset1:1
	ds_store_b64 v4, v[0:1] offset:8960
	global_wb scope:SCOPE_SE
	s_wait_dscnt 0x0
	s_barrier_signal -1
	s_barrier_wait -1
	global_inv scope:SCOPE_SE
	s_and_saveexec_b32 s0, vcc_lo
	s_cbranch_execz .LBB0_24
; %bb.22:
	v_mul_lo_u32 v3, s3, v30
	v_mul_lo_u32 v4, s2, v31
	v_mad_co_u64_u32 v[0:1], null, s2, v30, 0
	v_lshl_add_u32 v2, v26, 3, v63
	v_dual_mov_b32 v27, v29 :: v_dual_add_nc_u32 v28, 0x70, v26
	v_lshlrev_b64_e32 v[11:12], 3, v[24:25]
	s_delay_alu instid0(VALU_DEP_3) | instskip(SKIP_1) | instid1(VALU_DEP_4)
	v_add_nc_u32_e32 v7, 0x400, v2
	v_add3_u32 v1, v1, v4, v3
	v_lshlrev_b64_e32 v[13:14], 3, v[26:27]
	ds_load_2addr_b64 v[3:6], v2 offset1:112
	v_lshlrev_b64_e32 v[15:16], 3, v[28:29]
	v_add_nc_u32_e32 v28, 0xe0, v26
	v_lshlrev_b64_e32 v[0:1], 3, v[0:1]
	ds_load_2addr_b64 v[7:10], v7 offset0:96 offset1:208
	v_add_nc_u32_e32 v21, 0xc00, v2
	v_lshlrev_b64_e32 v[17:18], 3, v[28:29]
	v_add_nc_u32_e32 v28, 0x150, v26
	v_add_co_u32 v0, vcc_lo, s6, v0
	s_wait_alu 0xfffd
	v_add_co_ci_u32_e32 v1, vcc_lo, s7, v1, vcc_lo
	s_delay_alu instid0(VALU_DEP_2) | instskip(SKIP_1) | instid1(VALU_DEP_2)
	v_add_co_u32 v0, vcc_lo, v0, v11
	s_wait_alu 0xfffd
	v_add_co_ci_u32_e32 v1, vcc_lo, v1, v12, vcc_lo
	s_delay_alu instid0(VALU_DEP_2) | instskip(SKIP_1) | instid1(VALU_DEP_2)
	v_add_co_u32 v11, vcc_lo, v0, v13
	s_wait_alu 0xfffd
	v_add_co_ci_u32_e32 v12, vcc_lo, v1, v14, vcc_lo
	v_add_co_u32 v13, vcc_lo, v0, v15
	s_wait_alu 0xfffd
	v_add_co_ci_u32_e32 v14, vcc_lo, v1, v16, vcc_lo
	v_lshlrev_b64_e32 v[15:16], 3, v[28:29]
	v_add_co_u32 v17, vcc_lo, v0, v17
	v_add_nc_u32_e32 v28, 0x1c0, v26
	s_wait_alu 0xfffd
	v_add_co_ci_u32_e32 v18, vcc_lo, v1, v18, vcc_lo
	s_delay_alu instid0(VALU_DEP_4)
	v_add_co_u32 v15, vcc_lo, v0, v15
	s_wait_alu 0xfffd
	v_add_co_ci_u32_e32 v16, vcc_lo, v1, v16, vcc_lo
	v_lshlrev_b64_e32 v[19:20], 3, v[28:29]
	v_add_nc_u32_e32 v28, 0x230, v26
	s_wait_dscnt 0x1
	s_clause 0x1
	global_store_b64 v[11:12], v[3:4], off
	global_store_b64 v[13:14], v[5:6], off
	s_wait_dscnt 0x0
	s_clause 0x1
	global_store_b64 v[17:18], v[7:8], off
	global_store_b64 v[15:16], v[9:10], off
	v_add_nc_u32_e32 v7, 0x1400, v2
	ds_load_2addr_b64 v[3:6], v21 offset0:64 offset1:176
	v_add_nc_u32_e32 v21, 0x1800, v2
	v_lshlrev_b64_e32 v[11:12], 3, v[28:29]
	v_add_nc_u32_e32 v28, 0x2a0, v26
	ds_load_2addr_b64 v[7:10], v7 offset0:32 offset1:144
	v_add_co_u32 v13, vcc_lo, v0, v19
	s_wait_alu 0xfffd
	v_add_co_ci_u32_e32 v14, vcc_lo, v1, v20, vcc_lo
	v_lshlrev_b64_e32 v[15:16], 3, v[28:29]
	v_add_nc_u32_e32 v28, 0x310, v26
	v_add_co_u32 v11, vcc_lo, v0, v11
	s_wait_alu 0xfffd
	v_add_co_ci_u32_e32 v12, vcc_lo, v1, v12, vcc_lo
	s_delay_alu instid0(VALU_DEP_3) | instskip(SKIP_4) | instid1(VALU_DEP_4)
	v_lshlrev_b64_e32 v[17:18], 3, v[28:29]
	v_add_co_u32 v15, vcc_lo, v0, v15
	v_add_nc_u32_e32 v28, 0x380, v26
	s_wait_alu 0xfffd
	v_add_co_ci_u32_e32 v16, vcc_lo, v1, v16, vcc_lo
	v_add_co_u32 v17, vcc_lo, v0, v17
	s_wait_alu 0xfffd
	v_add_co_ci_u32_e32 v18, vcc_lo, v1, v18, vcc_lo
	v_lshlrev_b64_e32 v[19:20], 3, v[28:29]
	v_add_nc_u32_e32 v28, 0x3f0, v26
	s_wait_dscnt 0x1
	s_clause 0x1
	global_store_b64 v[13:14], v[3:4], off
	global_store_b64 v[11:12], v[5:6], off
	s_wait_dscnt 0x0
	s_clause 0x1
	global_store_b64 v[15:16], v[7:8], off
	global_store_b64 v[17:18], v[9:10], off
	v_add_nc_u32_e32 v7, 0x2000, v2
	ds_load_2addr_b64 v[3:6], v21 offset0:128 offset1:240
	v_add_nc_u32_e32 v21, 0x2800, v2
	v_lshlrev_b64_e32 v[11:12], 3, v[28:29]
	v_add_nc_u32_e32 v28, 0x460, v26
	ds_load_2addr_b64 v[7:10], v7 offset0:96 offset1:208
	v_add_co_u32 v13, vcc_lo, v0, v19
	s_wait_alu 0xfffd
	v_add_co_ci_u32_e32 v14, vcc_lo, v1, v20, vcc_lo
	v_lshlrev_b64_e32 v[15:16], 3, v[28:29]
	v_add_nc_u32_e32 v28, 0x4d0, v26
	v_add_co_u32 v11, vcc_lo, v0, v11
	s_wait_alu 0xfffd
	v_add_co_ci_u32_e32 v12, vcc_lo, v1, v12, vcc_lo
	s_delay_alu instid0(VALU_DEP_3) | instskip(SKIP_4) | instid1(VALU_DEP_3)
	v_lshlrev_b64_e32 v[17:18], 3, v[28:29]
	v_add_nc_u32_e32 v28, 0x540, v26
	v_add_co_u32 v15, vcc_lo, v0, v15
	s_wait_alu 0xfffd
	v_add_co_ci_u32_e32 v16, vcc_lo, v1, v16, vcc_lo
	v_lshlrev_b64_e32 v[19:20], 3, v[28:29]
	v_add_nc_u32_e32 v28, 0x5b0, v26
	v_add_co_u32 v17, vcc_lo, v0, v17
	s_wait_alu 0xfffd
	v_add_co_ci_u32_e32 v18, vcc_lo, v1, v18, vcc_lo
	s_wait_dscnt 0x1
	s_clause 0x1
	global_store_b64 v[13:14], v[3:4], off
	global_store_b64 v[11:12], v[5:6], off
	s_wait_dscnt 0x0
	s_clause 0x1
	global_store_b64 v[15:16], v[7:8], off
	global_store_b64 v[17:18], v[9:10], off
	v_lshlrev_b64_e32 v[7:8], 3, v[28:29]
	v_add_nc_u32_e32 v28, 0x620, v26
	v_add_co_u32 v15, vcc_lo, v0, v19
	s_wait_alu 0xfffd
	v_add_co_ci_u32_e32 v16, vcc_lo, v1, v20, vcc_lo
	s_delay_alu instid0(VALU_DEP_3) | instskip(SKIP_4) | instid1(VALU_DEP_4)
	v_lshlrev_b64_e32 v[11:12], 3, v[28:29]
	v_add_nc_u32_e32 v28, 0x690, v26
	v_add_nc_u32_e32 v9, 0x3000, v2
	v_add_co_u32 v17, vcc_lo, v0, v7
	v_add_nc_u32_e32 v13, 0x3800, v2
	v_lshlrev_b64_e32 v[19:20], 3, v[28:29]
	v_add_nc_u32_e32 v28, 0x700, v26
	ds_load_2addr_b64 v[3:6], v21 offset0:64 offset1:176
	s_wait_alu 0xfffd
	v_add_co_ci_u32_e32 v18, vcc_lo, v1, v8, vcc_lo
	ds_load_2addr_b64 v[7:10], v9 offset0:32 offset1:144
	v_lshlrev_b64_e32 v[23:24], 3, v[28:29]
	v_add_nc_u32_e32 v28, 0x770, v26
	v_add_co_u32 v21, vcc_lo, v0, v11
	s_wait_alu 0xfffd
	v_add_co_ci_u32_e32 v22, vcc_lo, v1, v12, vcc_lo
	ds_load_2addr_b64 v[11:14], v13 offset1:112
	v_add_co_u32 v19, vcc_lo, v0, v19
	v_lshlrev_b64_e32 v[27:28], 3, v[28:29]
	s_wait_alu 0xfffd
	v_add_co_ci_u32_e32 v20, vcc_lo, v1, v20, vcc_lo
	v_add_co_u32 v23, vcc_lo, v0, v23
	s_wait_alu 0xfffd
	v_add_co_ci_u32_e32 v24, vcc_lo, v1, v24, vcc_lo
	v_add_co_u32 v27, vcc_lo, v0, v27
	s_wait_alu 0xfffd
	v_add_co_ci_u32_e32 v28, vcc_lo, v1, v28, vcc_lo
	v_cmp_eq_u32_e32 vcc_lo, 0x6f, v26
	s_wait_dscnt 0x2
	s_clause 0x1
	global_store_b64 v[15:16], v[3:4], off
	global_store_b64 v[17:18], v[5:6], off
	s_wait_dscnt 0x1
	s_clause 0x1
	global_store_b64 v[21:22], v[7:8], off
	global_store_b64 v[19:20], v[9:10], off
	;; [unrolled: 4-line block ×3, first 2 shown]
	s_and_b32 exec_lo, exec_lo, vcc_lo
	s_cbranch_execz .LBB0_24
; %bb.23:
	ds_load_b64 v[2:3], v2 offset:15240
	s_wait_dscnt 0x0
	global_store_b64 v[0:1], v[2:3], off offset:16128
.LBB0_24:
	s_nop 0
	s_sendmsg sendmsg(MSG_DEALLOC_VGPRS)
	s_endpgm
	.section	.rodata,"a",@progbits
	.p2align	6, 0x0
	.amdhsa_kernel fft_rtc_back_len2016_factors_2_2_2_2_2_3_3_7_wgs_224_tpt_112_halfLds_sp_op_CI_CI_unitstride_sbrr_R2C_dirReg
		.amdhsa_group_segment_fixed_size 0
		.amdhsa_private_segment_fixed_size 0
		.amdhsa_kernarg_size 104
		.amdhsa_user_sgpr_count 2
		.amdhsa_user_sgpr_dispatch_ptr 0
		.amdhsa_user_sgpr_queue_ptr 0
		.amdhsa_user_sgpr_kernarg_segment_ptr 1
		.amdhsa_user_sgpr_dispatch_id 0
		.amdhsa_user_sgpr_private_segment_size 0
		.amdhsa_wavefront_size32 1
		.amdhsa_uses_dynamic_stack 0
		.amdhsa_enable_private_segment 0
		.amdhsa_system_sgpr_workgroup_id_x 1
		.amdhsa_system_sgpr_workgroup_id_y 0
		.amdhsa_system_sgpr_workgroup_id_z 0
		.amdhsa_system_sgpr_workgroup_info 0
		.amdhsa_system_vgpr_workitem_id 0
		.amdhsa_next_free_vgpr 96
		.amdhsa_next_free_sgpr 39
		.amdhsa_reserve_vcc 1
		.amdhsa_float_round_mode_32 0
		.amdhsa_float_round_mode_16_64 0
		.amdhsa_float_denorm_mode_32 3
		.amdhsa_float_denorm_mode_16_64 3
		.amdhsa_fp16_overflow 0
		.amdhsa_workgroup_processor_mode 1
		.amdhsa_memory_ordered 1
		.amdhsa_forward_progress 0
		.amdhsa_round_robin_scheduling 0
		.amdhsa_exception_fp_ieee_invalid_op 0
		.amdhsa_exception_fp_denorm_src 0
		.amdhsa_exception_fp_ieee_div_zero 0
		.amdhsa_exception_fp_ieee_overflow 0
		.amdhsa_exception_fp_ieee_underflow 0
		.amdhsa_exception_fp_ieee_inexact 0
		.amdhsa_exception_int_div_zero 0
	.end_amdhsa_kernel
	.text
.Lfunc_end0:
	.size	fft_rtc_back_len2016_factors_2_2_2_2_2_3_3_7_wgs_224_tpt_112_halfLds_sp_op_CI_CI_unitstride_sbrr_R2C_dirReg, .Lfunc_end0-fft_rtc_back_len2016_factors_2_2_2_2_2_3_3_7_wgs_224_tpt_112_halfLds_sp_op_CI_CI_unitstride_sbrr_R2C_dirReg
                                        ; -- End function
	.section	.AMDGPU.csdata,"",@progbits
; Kernel info:
; codeLenInByte = 14584
; NumSgprs: 41
; NumVgprs: 96
; ScratchSize: 0
; MemoryBound: 0
; FloatMode: 240
; IeeeMode: 1
; LDSByteSize: 0 bytes/workgroup (compile time only)
; SGPRBlocks: 5
; VGPRBlocks: 11
; NumSGPRsForWavesPerEU: 41
; NumVGPRsForWavesPerEU: 96
; Occupancy: 16
; WaveLimiterHint : 1
; COMPUTE_PGM_RSRC2:SCRATCH_EN: 0
; COMPUTE_PGM_RSRC2:USER_SGPR: 2
; COMPUTE_PGM_RSRC2:TRAP_HANDLER: 0
; COMPUTE_PGM_RSRC2:TGID_X_EN: 1
; COMPUTE_PGM_RSRC2:TGID_Y_EN: 0
; COMPUTE_PGM_RSRC2:TGID_Z_EN: 0
; COMPUTE_PGM_RSRC2:TIDIG_COMP_CNT: 0
	.text
	.p2alignl 7, 3214868480
	.fill 96, 4, 3214868480
	.type	__hip_cuid_3bc1dcd2e4c21048,@object ; @__hip_cuid_3bc1dcd2e4c21048
	.section	.bss,"aw",@nobits
	.globl	__hip_cuid_3bc1dcd2e4c21048
__hip_cuid_3bc1dcd2e4c21048:
	.byte	0                               ; 0x0
	.size	__hip_cuid_3bc1dcd2e4c21048, 1

	.ident	"AMD clang version 19.0.0git (https://github.com/RadeonOpenCompute/llvm-project roc-6.4.0 25133 c7fe45cf4b819c5991fe208aaa96edf142730f1d)"
	.section	".note.GNU-stack","",@progbits
	.addrsig
	.addrsig_sym __hip_cuid_3bc1dcd2e4c21048
	.amdgpu_metadata
---
amdhsa.kernels:
  - .args:
      - .actual_access:  read_only
        .address_space:  global
        .offset:         0
        .size:           8
        .value_kind:     global_buffer
      - .offset:         8
        .size:           8
        .value_kind:     by_value
      - .actual_access:  read_only
        .address_space:  global
        .offset:         16
        .size:           8
        .value_kind:     global_buffer
      - .actual_access:  read_only
        .address_space:  global
        .offset:         24
        .size:           8
        .value_kind:     global_buffer
      - .actual_access:  read_only
        .address_space:  global
        .offset:         32
        .size:           8
        .value_kind:     global_buffer
      - .offset:         40
        .size:           8
        .value_kind:     by_value
      - .actual_access:  read_only
        .address_space:  global
        .offset:         48
        .size:           8
        .value_kind:     global_buffer
      - .actual_access:  read_only
        .address_space:  global
        .offset:         56
        .size:           8
        .value_kind:     global_buffer
      - .offset:         64
        .size:           4
        .value_kind:     by_value
      - .actual_access:  read_only
        .address_space:  global
        .offset:         72
        .size:           8
        .value_kind:     global_buffer
      - .actual_access:  read_only
        .address_space:  global
        .offset:         80
        .size:           8
        .value_kind:     global_buffer
      - .actual_access:  read_only
        .address_space:  global
        .offset:         88
        .size:           8
        .value_kind:     global_buffer
      - .actual_access:  write_only
        .address_space:  global
        .offset:         96
        .size:           8
        .value_kind:     global_buffer
    .group_segment_fixed_size: 0
    .kernarg_segment_align: 8
    .kernarg_segment_size: 104
    .language:       OpenCL C
    .language_version:
      - 2
      - 0
    .max_flat_workgroup_size: 224
    .name:           fft_rtc_back_len2016_factors_2_2_2_2_2_3_3_7_wgs_224_tpt_112_halfLds_sp_op_CI_CI_unitstride_sbrr_R2C_dirReg
    .private_segment_fixed_size: 0
    .sgpr_count:     41
    .sgpr_spill_count: 0
    .symbol:         fft_rtc_back_len2016_factors_2_2_2_2_2_3_3_7_wgs_224_tpt_112_halfLds_sp_op_CI_CI_unitstride_sbrr_R2C_dirReg.kd
    .uniform_work_group_size: 1
    .uses_dynamic_stack: false
    .vgpr_count:     96
    .vgpr_spill_count: 0
    .wavefront_size: 32
    .workgroup_processor_mode: 1
amdhsa.target:   amdgcn-amd-amdhsa--gfx1201
amdhsa.version:
  - 1
  - 2
...

	.end_amdgpu_metadata
